;; amdgpu-corpus repo=ROCm/rocFFT kind=compiled arch=gfx950 opt=O3
	.text
	.amdgcn_target "amdgcn-amd-amdhsa--gfx950"
	.amdhsa_code_object_version 6
	.protected	fft_rtc_back_len867_factors_17_17_3_wgs_51_tpt_51_halfLds_sp_ip_CI_sbrr_dirReg ; -- Begin function fft_rtc_back_len867_factors_17_17_3_wgs_51_tpt_51_halfLds_sp_ip_CI_sbrr_dirReg
	.globl	fft_rtc_back_len867_factors_17_17_3_wgs_51_tpt_51_halfLds_sp_ip_CI_sbrr_dirReg
	.p2align	8
	.type	fft_rtc_back_len867_factors_17_17_3_wgs_51_tpt_51_halfLds_sp_ip_CI_sbrr_dirReg,@function
fft_rtc_back_len867_factors_17_17_3_wgs_51_tpt_51_halfLds_sp_ip_CI_sbrr_dirReg: ; @fft_rtc_back_len867_factors_17_17_3_wgs_51_tpt_51_halfLds_sp_ip_CI_sbrr_dirReg
; %bb.0:
	s_load_dwordx2 s[12:13], s[0:1], 0x18
	s_load_dwordx4 s[4:7], s[0:1], 0x0
	s_load_dwordx2 s[10:11], s[0:1], 0x50
	v_mul_u32_u24_e32 v1, 0x506, v0
	v_add_u32_sdwa v6, s2, v1 dst_sel:DWORD dst_unused:UNUSED_PAD src0_sel:DWORD src1_sel:WORD_1
	s_waitcnt lgkmcnt(0)
	s_load_dwordx2 s[8:9], s[12:13], 0x0
	v_mov_b32_e32 v4, 0
	v_cmp_lt_u64_e64 s[2:3], s[6:7], 2
	v_mov_b32_e32 v7, v4
	s_and_b64 vcc, exec, s[2:3]
	v_mov_b64_e32 v[2:3], 0
	s_cbranch_vccnz .LBB0_8
; %bb.1:
	s_load_dwordx2 s[2:3], s[0:1], 0x10
	s_add_u32 s14, s12, 8
	s_addc_u32 s15, s13, 0
	s_mov_b64 s[16:17], 1
	v_mov_b64_e32 v[2:3], 0
	s_waitcnt lgkmcnt(0)
	s_add_u32 s18, s2, 8
	s_addc_u32 s19, s3, 0
.LBB0_2:                                ; =>This Inner Loop Header: Depth=1
	s_load_dwordx2 s[20:21], s[18:19], 0x0
                                        ; implicit-def: $vgpr8_vgpr9
	s_waitcnt lgkmcnt(0)
	v_or_b32_e32 v5, s21, v7
	v_cmp_ne_u64_e32 vcc, 0, v[4:5]
	s_and_saveexec_b64 s[2:3], vcc
	s_xor_b64 s[22:23], exec, s[2:3]
	s_cbranch_execz .LBB0_4
; %bb.3:                                ;   in Loop: Header=BB0_2 Depth=1
	v_cvt_f32_u32_e32 v1, s20
	v_cvt_f32_u32_e32 v5, s21
	s_sub_u32 s2, 0, s20
	s_subb_u32 s3, 0, s21
	v_fmac_f32_e32 v1, 0x4f800000, v5
	v_rcp_f32_e32 v1, v1
	s_nop 0
	v_mul_f32_e32 v1, 0x5f7ffffc, v1
	v_mul_f32_e32 v5, 0x2f800000, v1
	v_trunc_f32_e32 v5, v5
	v_fmac_f32_e32 v1, 0xcf800000, v5
	v_cvt_u32_f32_e32 v5, v5
	v_cvt_u32_f32_e32 v1, v1
	v_mul_lo_u32 v8, s2, v5
	v_mul_hi_u32 v10, s2, v1
	v_mul_lo_u32 v9, s3, v1
	v_add_u32_e32 v10, v10, v8
	v_mul_lo_u32 v12, s2, v1
	v_add_u32_e32 v13, v10, v9
	v_mul_hi_u32 v8, v1, v12
	v_mul_hi_u32 v11, v1, v13
	v_mul_lo_u32 v10, v1, v13
	v_mov_b32_e32 v9, v4
	v_lshl_add_u64 v[8:9], v[8:9], 0, v[10:11]
	v_mul_hi_u32 v11, v5, v12
	v_mul_lo_u32 v12, v5, v12
	v_add_co_u32_e32 v8, vcc, v8, v12
	v_mul_hi_u32 v10, v5, v13
	s_nop 0
	v_addc_co_u32_e32 v8, vcc, v9, v11, vcc
	v_mov_b32_e32 v9, v4
	s_nop 0
	v_addc_co_u32_e32 v11, vcc, 0, v10, vcc
	v_mul_lo_u32 v10, v5, v13
	v_lshl_add_u64 v[8:9], v[8:9], 0, v[10:11]
	v_add_co_u32_e32 v1, vcc, v1, v8
	v_mul_lo_u32 v10, s2, v1
	s_nop 0
	v_addc_co_u32_e32 v5, vcc, v5, v9, vcc
	v_mul_lo_u32 v8, s2, v5
	v_mul_hi_u32 v9, s2, v1
	v_add_u32_e32 v8, v9, v8
	v_mul_lo_u32 v9, s3, v1
	v_add_u32_e32 v12, v8, v9
	v_mul_hi_u32 v14, v5, v10
	v_mul_lo_u32 v15, v5, v10
	v_mul_hi_u32 v9, v1, v12
	v_mul_lo_u32 v8, v1, v12
	v_mul_hi_u32 v10, v1, v10
	v_mov_b32_e32 v11, v4
	v_lshl_add_u64 v[8:9], v[10:11], 0, v[8:9]
	v_add_co_u32_e32 v8, vcc, v8, v15
	v_mul_hi_u32 v13, v5, v12
	s_nop 0
	v_addc_co_u32_e32 v8, vcc, v9, v14, vcc
	v_mul_lo_u32 v10, v5, v12
	s_nop 0
	v_addc_co_u32_e32 v11, vcc, 0, v13, vcc
	v_mov_b32_e32 v9, v4
	v_lshl_add_u64 v[8:9], v[8:9], 0, v[10:11]
	v_add_co_u32_e32 v1, vcc, v1, v8
	v_mul_hi_u32 v10, v6, v1
	s_nop 0
	v_addc_co_u32_e32 v5, vcc, v5, v9, vcc
	v_mad_u64_u32 v[8:9], s[2:3], v6, v5, 0
	v_mov_b32_e32 v11, v4
	v_lshl_add_u64 v[8:9], v[10:11], 0, v[8:9]
	v_mad_u64_u32 v[12:13], s[2:3], v7, v1, 0
	v_add_co_u32_e32 v1, vcc, v8, v12
	v_mad_u64_u32 v[10:11], s[2:3], v7, v5, 0
	s_nop 0
	v_addc_co_u32_e32 v8, vcc, v9, v13, vcc
	v_mov_b32_e32 v9, v4
	s_nop 0
	v_addc_co_u32_e32 v11, vcc, 0, v11, vcc
	v_lshl_add_u64 v[8:9], v[8:9], 0, v[10:11]
	v_mul_lo_u32 v1, s21, v8
	v_mul_lo_u32 v5, s20, v9
	v_mad_u64_u32 v[10:11], s[2:3], s20, v8, 0
	v_add3_u32 v1, v11, v5, v1
	v_sub_u32_e32 v5, v7, v1
	v_mov_b32_e32 v11, s21
	v_sub_co_u32_e32 v14, vcc, v6, v10
	v_lshl_add_u64 v[12:13], v[8:9], 0, 1
	s_nop 0
	v_subb_co_u32_e64 v5, s[2:3], v5, v11, vcc
	v_subrev_co_u32_e64 v10, s[2:3], s20, v14
	v_subb_co_u32_e32 v1, vcc, v7, v1, vcc
	s_nop 0
	v_subbrev_co_u32_e64 v5, s[2:3], 0, v5, s[2:3]
	v_cmp_le_u32_e64 s[2:3], s21, v5
	v_cmp_le_u32_e32 vcc, s21, v1
	s_nop 0
	v_cndmask_b32_e64 v11, 0, -1, s[2:3]
	v_cmp_le_u32_e64 s[2:3], s20, v10
	s_nop 1
	v_cndmask_b32_e64 v10, 0, -1, s[2:3]
	v_cmp_eq_u32_e64 s[2:3], s21, v5
	s_nop 1
	v_cndmask_b32_e64 v5, v11, v10, s[2:3]
	v_lshl_add_u64 v[10:11], v[8:9], 0, 2
	v_cmp_ne_u32_e64 s[2:3], 0, v5
	s_nop 1
	v_cndmask_b32_e64 v5, v13, v11, s[2:3]
	v_cndmask_b32_e64 v11, 0, -1, vcc
	v_cmp_le_u32_e32 vcc, s20, v14
	s_nop 1
	v_cndmask_b32_e64 v13, 0, -1, vcc
	v_cmp_eq_u32_e32 vcc, s21, v1
	s_nop 1
	v_cndmask_b32_e32 v1, v11, v13, vcc
	v_cmp_ne_u32_e32 vcc, 0, v1
	v_cndmask_b32_e64 v1, v12, v10, s[2:3]
	s_nop 0
	v_cndmask_b32_e32 v9, v9, v5, vcc
	v_cndmask_b32_e32 v8, v8, v1, vcc
.LBB0_4:                                ;   in Loop: Header=BB0_2 Depth=1
	s_andn2_saveexec_b64 s[2:3], s[22:23]
	s_cbranch_execz .LBB0_6
; %bb.5:                                ;   in Loop: Header=BB0_2 Depth=1
	v_cvt_f32_u32_e32 v1, s20
	s_sub_i32 s22, 0, s20
	v_rcp_iflag_f32_e32 v1, v1
	s_nop 0
	v_mul_f32_e32 v1, 0x4f7ffffe, v1
	v_cvt_u32_f32_e32 v1, v1
	v_mul_lo_u32 v5, s22, v1
	v_mul_hi_u32 v5, v1, v5
	v_add_u32_e32 v1, v1, v5
	v_mul_hi_u32 v1, v6, v1
	v_mul_lo_u32 v5, v1, s20
	v_sub_u32_e32 v5, v6, v5
	v_add_u32_e32 v8, 1, v1
	v_subrev_u32_e32 v9, s20, v5
	v_cmp_le_u32_e32 vcc, s20, v5
	s_nop 1
	v_cndmask_b32_e32 v5, v5, v9, vcc
	v_cndmask_b32_e32 v1, v1, v8, vcc
	v_add_u32_e32 v8, 1, v1
	v_cmp_le_u32_e32 vcc, s20, v5
	v_mov_b32_e32 v9, v4
	s_nop 0
	v_cndmask_b32_e32 v8, v1, v8, vcc
.LBB0_6:                                ;   in Loop: Header=BB0_2 Depth=1
	s_or_b64 exec, exec, s[2:3]
	v_mad_u64_u32 v[10:11], s[2:3], v8, s20, 0
	s_load_dwordx2 s[2:3], s[14:15], 0x0
	v_mul_lo_u32 v1, v9, s20
	v_mul_lo_u32 v5, v8, s21
	v_add3_u32 v1, v11, v5, v1
	v_sub_co_u32_e32 v5, vcc, v6, v10
	s_add_u32 s16, s16, 1
	s_nop 0
	v_subb_co_u32_e32 v1, vcc, v7, v1, vcc
	s_addc_u32 s17, s17, 0
	s_waitcnt lgkmcnt(0)
	v_mul_lo_u32 v1, s2, v1
	v_mul_lo_u32 v6, s3, v5
	v_mad_u64_u32 v[2:3], s[2:3], s2, v5, v[2:3]
	s_add_u32 s14, s14, 8
	v_add3_u32 v3, v6, v3, v1
	s_addc_u32 s15, s15, 0
	v_mov_b64_e32 v[6:7], s[6:7]
	s_add_u32 s18, s18, 8
	v_cmp_ge_u64_e32 vcc, s[16:17], v[6:7]
	s_addc_u32 s19, s19, 0
	s_cbranch_vccnz .LBB0_9
; %bb.7:                                ;   in Loop: Header=BB0_2 Depth=1
	v_mov_b64_e32 v[6:7], v[8:9]
	s_branch .LBB0_2
.LBB0_8:
	v_mov_b64_e32 v[8:9], v[6:7]
.LBB0_9:
	s_lshl_b64 s[2:3], s[6:7], 3
	s_add_u32 s2, s12, s2
	s_addc_u32 s3, s13, s3
	s_load_dwordx2 s[6:7], s[2:3], 0x0
	s_load_dwordx2 s[12:13], s[0:1], 0x20
	s_mov_b32 s2, 0x5050506
                                        ; implicit-def: $vgpr168
                                        ; implicit-def: $vgpr165
                                        ; implicit-def: $vgpr166
                                        ; implicit-def: $vgpr167
                                        ; implicit-def: $vgpr163
	s_waitcnt lgkmcnt(0)
	v_mul_lo_u32 v1, s6, v9
	v_mul_lo_u32 v4, s7, v8
	v_mad_u64_u32 v[2:3], s[0:1], s6, v8, v[2:3]
	v_add3_u32 v3, v4, v3, v1
	v_mul_hi_u32 v1, v0, s2
	v_mul_u32_u24_e32 v1, 51, v1
	v_sub_u32_e32 v162, v0, v1
	v_cmp_gt_u64_e32 vcc, s[12:13], v[8:9]
	v_cmp_le_u64_e64 s[0:1], s[12:13], v[8:9]
	v_add_u32_e32 v164, 51, v162
                                        ; implicit-def: $sgpr2_sgpr3
	s_and_saveexec_b64 s[6:7], s[0:1]
	s_xor_b64 s[0:1], exec, s[6:7]
; %bb.10:
	v_add_u32_e32 v168, 51, v162
	v_add_u32_e32 v165, 0x66, v162
	v_add_u32_e32 v166, 0x99, v162
	v_add_u32_e32 v167, 0xcc, v162
	v_add_u32_e32 v163, 0xff, v162
	s_mov_b64 s[2:3], 0
; %bb.11:
	s_or_saveexec_b64 s[0:1], s[0:1]
	v_mov_b64_e32 v[0:1], s[2:3]
	v_lshl_add_u64 v[32:33], v[2:3], 3, s[10:11]
                                        ; implicit-def: $vgpr38
                                        ; implicit-def: $vgpr68
                                        ; implicit-def: $vgpr70
                                        ; implicit-def: $vgpr80
                                        ; implicit-def: $vgpr40
                                        ; implicit-def: $vgpr42
                                        ; implicit-def: $vgpr2
                                        ; implicit-def: $vgpr4
                                        ; implicit-def: $vgpr20
                                        ; implicit-def: $vgpr12
                                        ; implicit-def: $vgpr14
                                        ; implicit-def: $vgpr16
                                        ; implicit-def: $vgpr18
                                        ; implicit-def: $vgpr6
                                        ; implicit-def: $vgpr8
                                        ; implicit-def: $vgpr10
	s_xor_b64 exec, exec, s[0:1]
	s_cbranch_execz .LBB0_13
; %bb.12:
	v_mad_u64_u32 v[0:1], s[2:3], s8, v162, 0
	v_mov_b32_e32 v2, v1
	v_mad_u64_u32 v[2:3], s[2:3], s9, v162, v[2:3]
	v_mov_b32_e32 v1, v2
	v_lshl_add_u64 v[2:3], v[0:1], 3, v[32:33]
	v_mad_u64_u32 v[0:1], s[2:3], s8, v164, 0
	v_mov_b32_e32 v4, v1
	v_mad_u64_u32 v[4:5], s[2:3], s9, v164, v[4:5]
	v_mov_b32_e32 v1, v4
	v_add_u32_e32 v165, 0x66, v162
	v_lshl_add_u64 v[4:5], v[0:1], 3, v[32:33]
	v_mad_u64_u32 v[0:1], s[2:3], s8, v165, 0
	v_mov_b32_e32 v6, v1
	v_mad_u64_u32 v[6:7], s[2:3], s9, v165, v[6:7]
	v_mov_b32_e32 v1, v6
	v_add_u32_e32 v166, 0x99, v162
	;; [unrolled: 6-line block ×3, first 2 shown]
	v_lshl_add_u64 v[8:9], v[0:1], 3, v[32:33]
	global_load_dwordx2 v[0:1], v[2:3], off
	global_load_dwordx2 v[38:39], v[4:5], off
	;; [unrolled: 1-line block ×4, first 2 shown]
	v_mad_u64_u32 v[2:3], s[2:3], s8, v167, 0
	v_mov_b32_e32 v4, v3
	v_mad_u64_u32 v[4:5], s[2:3], s9, v167, v[4:5]
	v_mov_b32_e32 v3, v4
	v_add_u32_e32 v163, 0xff, v162
	v_lshl_add_u64 v[4:5], v[2:3], 3, v[32:33]
	v_mad_u64_u32 v[2:3], s[2:3], s8, v163, 0
	v_mov_b32_e32 v6, v3
	v_mad_u64_u32 v[6:7], s[2:3], s9, v163, v[6:7]
	v_mov_b32_e32 v3, v6
	v_add_u32_e32 v9, 0x132, v162
	v_lshl_add_u64 v[6:7], v[2:3], 3, v[32:33]
	v_mad_u64_u32 v[2:3], s[2:3], s8, v9, 0
	v_mov_b32_e32 v8, v3
	v_mad_u64_u32 v[8:9], s[2:3], s9, v9, v[8:9]
	v_mov_b32_e32 v3, v8
	v_add_u32_e32 v11, 0x165, v162
	v_lshl_add_u64 v[8:9], v[2:3], 3, v[32:33]
	v_mad_u64_u32 v[2:3], s[2:3], s8, v11, 0
	v_mov_b32_e32 v10, v3
	v_mad_u64_u32 v[10:11], s[2:3], s9, v11, v[10:11]
	v_mov_b32_e32 v3, v10
	v_lshl_add_u64 v[10:11], v[2:3], 3, v[32:33]
	global_load_dwordx2 v[80:81], v[4:5], off
	global_load_dwordx2 v[40:41], v[6:7], off
	global_load_dwordx2 v[42:43], v[8:9], off
	global_load_dwordx2 v[2:3], v[10:11], off
	v_add_u32_e32 v7, 0x198, v162
	v_mad_u64_u32 v[4:5], s[2:3], s8, v7, 0
	v_mov_b32_e32 v6, v5
	v_mad_u64_u32 v[6:7], s[2:3], s9, v7, v[6:7]
	v_mov_b32_e32 v5, v6
	v_add_u32_e32 v7, 0x1cb, v162
	v_lshl_add_u64 v[12:13], v[4:5], 3, v[32:33]
	v_mad_u64_u32 v[4:5], s[2:3], s8, v7, 0
	v_mov_b32_e32 v6, v5
	v_mad_u64_u32 v[6:7], s[2:3], s9, v7, v[6:7]
	v_mov_b32_e32 v5, v6
	v_add_u32_e32 v7, 0x1fe, v162
	v_lshl_add_u64 v[14:15], v[4:5], 3, v[32:33]
	v_mad_u64_u32 v[4:5], s[2:3], s8, v7, 0
	v_mov_b32_e32 v6, v5
	v_mad_u64_u32 v[6:7], s[2:3], s9, v7, v[6:7]
	v_mov_b32_e32 v5, v6
	v_add_u32_e32 v7, 0x231, v162
	v_lshl_add_u64 v[16:17], v[4:5], 3, v[32:33]
	v_mad_u64_u32 v[4:5], s[2:3], s8, v7, 0
	v_mov_b32_e32 v6, v5
	v_mad_u64_u32 v[6:7], s[2:3], s9, v7, v[6:7]
	v_mov_b32_e32 v5, v6
	v_lshl_add_u64 v[18:19], v[4:5], 3, v[32:33]
	global_load_dwordx2 v[4:5], v[12:13], off
	global_load_dwordx2 v[10:11], v[14:15], off
	global_load_dwordx2 v[8:9], v[16:17], off
	global_load_dwordx2 v[6:7], v[18:19], off
	v_add_u32_e32 v15, 0x264, v162
	;; [unrolled: 28-line block ×3, first 2 shown]
	v_mad_u64_u32 v[20:21], s[2:3], s8, v23, 0
	v_mov_b32_e32 v22, v21
	v_mad_u64_u32 v[22:23], s[2:3], s9, v23, v[22:23]
	v_mov_b32_e32 v21, v22
	v_lshl_add_u64 v[20:21], v[20:21], 3, v[32:33]
	global_load_dwordx2 v[20:21], v[20:21], off
	v_mov_b32_e32 v168, v164
.LBB0_13:
	s_or_b64 exec, exec, s[0:1]
	s_waitcnt vmcnt(15)
	v_add_f32_e32 v22, v38, v0
	s_waitcnt vmcnt(14)
	v_add_f32_e32 v22, v68, v22
	;; [unrolled: 2-line block ×4, first 2 shown]
	s_mov_b32 s6, 0xbf06c442
	s_mov_b32 s14, 0xbf4c4adb
	s_waitcnt vmcnt(11)
	v_add_f32_e32 v44, v40, v22
	s_waitcnt vmcnt(0)
	v_pk_add_f32 v[24:25], v[38:39], v[20:21] neg_lo:[0,1] neg_hi:[0,1]
	s_mov_b32 s7, 0xbf59a7d5
	s_mov_b32 s15, 0xbf1a4643
	;; [unrolled: 1-line block ×3, first 2 shown]
	v_mov_b32_e32 v46, v42
	v_mov_b32_e32 v47, v38
	;; [unrolled: 1-line block ×3, first 2 shown]
	s_mov_b32 s21, 0x3f763a35
	s_mov_b32 s72, s14
	;; [unrolled: 1-line block ×4, first 2 shown]
	v_pk_add_f32 v[30:31], v[68:69], v[12:13] neg_lo:[0,1] neg_hi:[0,1]
	s_mov_b32 s1, 0x3ee437d1
	s_mov_b32 s10, 0xbf7ee86f
	;; [unrolled: 1-line block ×3, first 2 shown]
	v_pk_add_f32 v[60:61], v[46:47], v[44:45]
	v_pk_mul_f32 v[84:85], v[24:25], s[72:73] op_sel:[1,0]
	s_mov_b32 s80, s21
	s_mov_b32 s81, s16
	;; [unrolled: 1-line block ×4, first 2 shown]
	v_pk_add_f32 v[22:23], v[68:69], v[12:13]
	s_mov_b32 s3, 0x3f6eb680
	v_pk_add_f32 v[34:35], v[70:71], v[14:15] neg_lo:[0,1] neg_hi:[0,1]
	s_mov_b32 s11, 0x3dbcf732
	s_mov_b32 s40, 0x3f4c4adb
	;; [unrolled: 1-line block ×4, first 2 shown]
	v_pk_mul_f32 v[86:87], v[30:31], s[80:81] op_sel:[1,0]
	s_mov_b32 s74, s19
	s_mov_b32 s75, s10
	v_pk_fma_f32 v[46:47], v[60:61], s[38:39], v[84:85] op_sel:[1,0,0] neg_lo:[0,0,1] neg_hi:[0,0,1]
	v_pk_add_f32 v[26:27], v[70:71], v[14:15]
	v_pk_add_f32 v[36:37], v[80:81], v[16:17] neg_lo:[0,1] neg_hi:[0,1]
	s_mov_b32 s34, s3
	s_mov_b32 s35, s11
	v_pk_mul_f32 v[88:89], v[34:35], s[74:75] op_sel:[1,0]
	s_mov_b32 s76, s6
	s_mov_b32 s77, s40
	v_pk_fma_f32 v[44:45], v[22:23], s[30:31], v[86:87] op_sel_hi:[0,1,1] neg_lo:[0,0,1] neg_hi:[0,0,1]
	v_pk_add_f32 v[46:47], v[46:47], v[0:1] op_sel_hi:[1,0]
	v_pk_add_f32 v[28:29], v[80:81], v[16:17]
	s_mov_b32 s36, s7
	s_mov_b32 s37, s15
	v_pk_mul_f32 v[90:91], v[36:37], s[76:77] op_sel:[1,0]
	v_pk_add_f32 v[44:45], v[44:45], v[46:47]
	v_pk_fma_f32 v[46:47], v[26:27], s[34:35], v[88:89] op_sel_hi:[0,1,1] neg_lo:[0,0,1] neg_hi:[0,0,1]
	s_mov_b32 s67, 0x3f7ee86f
	v_pk_add_f32 v[44:45], v[46:47], v[44:45]
	v_pk_fma_f32 v[46:47], v[28:29], s[36:37], v[90:91] op_sel_hi:[0,1,1] neg_lo:[0,0,1] neg_hi:[0,0,1]
	v_pk_add_f32 v[52:53], v[40:41], v[18:19] neg_lo:[0,1] neg_hi:[0,1]
	s_mov_b32 s90, s67
	s_mov_b32 s91, s19
	v_pk_add_f32 v[46:47], v[46:47], v[44:45]
	s_mov_b32 s42, s11
	s_mov_b32 s43, s3
	v_pk_add_f32 v[44:45], v[40:41], v[18:19]
	v_pk_mul_f32 v[94:95], v[52:53], s[90:91] op_sel:[1,0]
	s_mov_b32 s24, 0xbe3c28d5
	s_mov_b32 s22, 0xbf2c7751
	v_pk_fma_f32 v[48:49], v[44:45], s[42:43], v[94:95] op_sel_hi:[0,1,1] neg_lo:[0,0,1] neg_hi:[0,0,1]
	s_mov_b32 s23, 0x3f3d2fb0
	s_mov_b32 s25, 0xbf7ba420
	;; [unrolled: 1-line block ×4, first 2 shown]
	v_pk_add_f32 v[54:55], v[42:43], v[6:7] neg_lo:[0,1] neg_hi:[0,1]
	s_mov_b32 s28, 0x3f06c442
	v_pk_add_f32 v[48:49], v[48:49], v[46:47]
	s_mov_b32 s44, s23
	s_mov_b32 s45, s25
	v_pk_add_f32 v[46:47], v[42:43], v[6:7]
	v_pk_mul_f32 v[96:97], v[54:55], s[88:89] op_sel:[1,0]
	s_mov_b32 s29, 0x3f2c7751
	v_pk_fma_f32 v[50:51], v[46:47], s[44:45], v[96:97] op_sel_hi:[0,1,1] neg_lo:[0,0,1] neg_hi:[0,0,1]
	s_mov_b32 s82, s24
	s_mov_b32 s83, s29
	v_pk_add_f32 v[56:57], v[2:3], v[8:9] neg_lo:[0,1] neg_hi:[0,1]
	v_pk_add_f32 v[50:51], v[50:51], v[48:49]
	s_mov_b32 s46, s25
	s_mov_b32 s47, s23
	v_pk_add_f32 v[48:49], v[2:3], v[8:9]
	v_pk_mul_f32 v[98:99], v[56:57], s[82:83] op_sel:[1,0]
	s_mov_b32 s12, 0xbf763a35
	v_pk_fma_f32 v[58:59], v[48:49], s[46:47], v[98:99] op_sel_hi:[0,1,1] neg_lo:[0,0,1] neg_hi:[0,0,1]
	v_pk_add_f32 v[62:63], v[58:59], v[50:51]
	s_mov_b32 s86, s16
	s_mov_b32 s87, s12
	v_pk_add_f32 v[58:59], v[4:5], v[10:11] neg_lo:[0,1] neg_hi:[0,1]
	s_mov_b32 s48, s1
	s_mov_b32 s49, s13
	v_pk_add_f32 v[50:51], v[4:5], v[10:11]
	v_pk_mul_f32 v[100:101], v[58:59], s[86:87] op_sel:[1,0]
	s_mov_b32 s78, s10
	s_mov_b32 s79, s12
	v_pk_fma_f32 v[64:65], v[50:51], s[48:49], v[100:101] op_sel_hi:[0,1,1] neg_lo:[0,0,1] neg_hi:[0,0,1]
	s_movk_i32 s0, 0x44
	s_mov_b32 s96, s24
	s_mov_b32 s97, s28
	;; [unrolled: 1-line block ×4, first 2 shown]
	v_pk_mul_f32 v[102:103], v[24:25], s[78:79] op_sel:[1,0]
	v_pk_add_f32 v[126:127], v[64:65], v[62:63]
	v_mad_u32_u24 v169, v162, s0, 0
	s_mov_b32 s50, s25
	s_mov_b32 s51, s7
	v_pk_fma_f32 v[62:63], v[60:61], s[52:53], v[102:103] op_sel:[1,0,0] neg_lo:[0,0,1] neg_hi:[0,0,1]
	v_pk_mul_f32 v[104:105], v[30:31], s[96:97] op_sel:[1,0]
	s_mov_b32 s94, s21
	s_mov_b32 s95, s29
	;; [unrolled: 1-line block ×4, first 2 shown]
	v_pk_add_f32 v[62:63], v[62:63], v[0:1] op_sel_hi:[1,0]
	v_pk_fma_f32 v[64:65], v[22:23], s[50:51], v[104:105] op_sel_hi:[0,1,1] neg_lo:[0,0,1] neg_hi:[0,0,1]
	s_mov_b32 s54, s13
	s_mov_b32 s55, s23
	v_pk_mul_f32 v[106:107], v[34:35], s[94:95] op_sel:[1,0]
	s_mov_b32 s92, s26
	s_mov_b32 s93, s0
	v_pk_add_f32 v[62:63], v[64:65], v[62:63]
	v_pk_fma_f32 v[64:65], v[26:27], s[54:55], v[106:107] op_sel_hi:[0,1,1] neg_lo:[0,0,1] neg_hi:[0,0,1]
	s_mov_b32 s56, s3
	s_mov_b32 s57, s1
	v_pk_mul_f32 v[108:109], v[36:37], s[92:93] op_sel:[1,0]
	s_mov_b32 s68, s0
	s_mov_b32 s69, s24
	v_pk_add_f32 v[62:63], v[64:65], v[62:63]
	v_pk_fma_f32 v[64:65], v[28:29], s[56:57], v[108:109] op_sel_hi:[0,1,1] neg_lo:[0,0,1] neg_hi:[0,0,1]
	s_mov_b32 s58, s1
	s_mov_b32 s59, s25
	v_pk_mul_f32 v[110:111], v[52:53], s[68:69] op_sel:[1,0]
	s_mov_b32 s66, s6
	v_pk_add_f32 v[62:63], v[64:65], v[62:63]
	v_pk_fma_f32 v[64:65], v[44:45], s[58:59], v[110:111] op_sel_hi:[0,1,1] neg_lo:[0,0,1] neg_hi:[0,0,1]
	s_mov_b32 s60, s7
	s_mov_b32 s61, s11
	v_pk_mul_f32 v[112:113], v[54:55], s[66:67] op_sel:[1,0]
	;; [unrolled: 6-line block ×3, first 2 shown]
	s_mov_b32 s70, s29
	s_mov_b32 s71, s14
	v_pk_add_f32 v[62:63], v[64:65], v[62:63]
	v_pk_fma_f32 v[64:65], v[48:49], s[62:63], v[114:115] op_sel_hi:[0,1,1] neg_lo:[0,0,1] neg_hi:[0,0,1]
	s_mov_b32 s64, s23
	s_mov_b32 s65, s15
	v_pk_mul_f32 v[116:117], v[58:59], s[70:71] op_sel:[1,0]
	v_pk_add_f32 v[62:63], v[64:65], v[62:63]
	v_pk_fma_f32 v[64:65], v[50:51], s[64:65], v[116:117] op_sel_hi:[0,1,1] neg_lo:[0,0,1] neg_hi:[0,0,1]
	v_pk_add_f32 v[130:131], v[64:65], v[62:63]
	v_pk_mul_f32 v[62:63], v[24:25], s[78:79] op_sel_hi:[0,1]
	s_mov_b32 s78, s22
	s_mov_b32 s79, s0
	;; [unrolled: 1-line block ×4, first 2 shown]
	v_pk_mul_f32 v[72:73], v[34:35], s[74:75] op_sel_hi:[0,1]
	s_mov_b32 s74, s23
	s_mov_b32 s75, s1
	v_pk_mul_f32 v[118:119], v[24:25], s[78:79] op_sel:[1,0]
	v_pk_mul_f32 v[64:65], v[24:25], s[72:73] op_sel_hi:[0,1]
	s_mov_b32 s72, s11
	s_mov_b32 s73, s15
	v_pk_fma_f32 v[74:75], v[60:61], s[74:75], v[118:119] op_sel:[1,0,0] neg_lo:[0,0,1] neg_hi:[0,0,1]
	v_pk_mul_f32 v[120:121], v[30:31], s[84:85] op_sel:[1,0]
	v_pk_add_f32 v[74:75], v[74:75], v[0:1] op_sel_hi:[1,0]
	v_pk_fma_f32 v[76:77], v[22:23], s[72:73], v[120:121] op_sel_hi:[0,1,1] neg_lo:[0,0,1] neg_hi:[0,0,1]
	v_pk_add_f32 v[78:79], v[76:77], v[74:75]
	v_pk_mul_f32 v[76:77], v[52:53], s[90:91] op_sel_hi:[0,1]
	s_mov_b32 s91, 0x3e3c28d5
	s_mov_b32 s90, s14
	v_pk_mul_f32 v[74:75], v[36:37], s[76:77] op_sel_hi:[0,1]
	s_mov_b32 s76, s15
	s_mov_b32 s77, s25
	v_pk_mul_f32 v[128:129], v[34:35], s[90:91] op_sel:[1,0]
	s_mov_b32 s20, s24
	v_pk_mul_f32 v[66:67], v[30:31], s[80:81] op_sel_hi:[0,1]
	v_pk_fma_f32 v[82:83], v[26:27], s[76:77], v[128:129] op_sel_hi:[0,1,1] neg_lo:[0,0,1] neg_hi:[0,0,1]
	s_mov_b32 s80, s25
	s_mov_b32 s81, s13
	v_pk_mul_f32 v[134:135], v[36:37], s[20:21] op_sel:[1,0]
	v_pk_add_f32 v[82:83], v[82:83], v[78:79]
	v_pk_fma_f32 v[92:93], v[28:29], s[80:81], v[134:135] op_sel_hi:[0,1,1] neg_lo:[0,0,1] neg_hi:[0,0,1]
	v_pk_add_f32 v[92:93], v[92:93], v[82:83]
	v_pk_mul_f32 v[82:83], v[56:57], s[82:83] op_sel_hi:[0,1]
	s_mov_b32 s82, s7
	s_mov_b32 s83, s23
	v_pk_mul_f32 v[138:139], v[52:53], s[28:29] op_sel:[1,0]
	s_mov_b32 s18, s21
	v_pk_fma_f32 v[122:123], v[44:45], s[82:83], v[138:139] op_sel_hi:[0,1,1] neg_lo:[0,0,1] neg_hi:[0,0,1]
	s_mov_b32 s2, s13
	v_pk_mul_f32 v[140:141], v[54:55], s[18:19] op_sel:[1,0]
	v_pk_add_f32 v[92:93], v[122:123], v[92:93]
	v_pk_fma_f32 v[122:123], v[46:47], s[2:3], v[140:141] op_sel_hi:[0,1,1] neg_lo:[0,0,1] neg_hi:[0,0,1]
	s_mov_b32 s17, s10
	v_pk_fma_f32 v[84:85], v[60:61], s[38:39], v[84:85] op_sel:[1,0,0]
	v_pk_add_f32 v[122:123], v[122:123], v[92:93]
	v_pk_mul_f32 v[92:93], v[58:59], s[86:87] op_sel_hi:[0,1]
	s_mov_b32 s86, s1
	s_mov_b32 s87, s11
	v_pk_mul_f32 v[142:143], v[56:57], s[16:17] op_sel:[1,0]
	s_mov_b32 s27, s6
	v_pk_fma_f32 v[86:87], v[22:23], s[30:31], v[86:87] op_sel_hi:[0,1,1]
	v_pk_add_f32 v[84:85], v[84:85], v[0:1] op_sel_hi:[1,0]
	v_pk_mul_f32 v[78:79], v[54:55], s[88:89] op_sel_hi:[0,1]
	v_pk_fma_f32 v[124:125], v[48:49], s[86:87], v[142:143] op_sel_hi:[0,1,1] neg_lo:[0,0,1] neg_hi:[0,0,1]
	s_mov_b32 s88, s3
	s_mov_b32 s89, s7
	v_pk_mul_f32 v[144:145], v[58:59], s[26:27] op_sel:[1,0]
	v_pk_add_f32 v[84:85], v[86:87], v[84:85]
	v_pk_fma_f32 v[86:87], v[26:27], s[34:35], v[88:89] op_sel_hi:[0,1,1]
	v_pk_add_f32 v[122:123], v[124:125], v[122:123]
	v_pk_fma_f32 v[124:125], v[50:51], s[88:89], v[144:145] op_sel_hi:[0,1,1] neg_lo:[0,0,1] neg_hi:[0,0,1]
	v_pk_add_f32 v[84:85], v[86:87], v[84:85]
	v_pk_fma_f32 v[86:87], v[28:29], s[36:37], v[90:91] op_sel_hi:[0,1,1]
	v_pk_add_f32 v[132:133], v[124:125], v[122:123]
	v_pk_add_f32 v[84:85], v[86:87], v[84:85]
	v_pk_fma_f32 v[86:87], v[44:45], s[42:43], v[94:95] op_sel_hi:[0,1,1]
	v_mov_b32_e32 v40, v131
	v_mov_b32_e32 v42, v133
	;; [unrolled: 1-line block ×9, first 2 shown]
	v_pk_add_f32 v[84:85], v[86:87], v[84:85]
	v_pk_fma_f32 v[86:87], v[46:47], s[44:45], v[96:97] op_sel_hi:[0,1,1]
	v_mov_b32_e32 v38, v127
	v_pk_mul_f32 v[124:125], v[148:149], s[0:1]
	v_mov_b32_e32 v131, v126
	v_pk_mul_f32 v[126:127], v[152:153], s[10:11]
	ds_write2_b32 v169, v40, v133 offset0:12 offset1:13
	ds_write2_b32 v169, v42, v132 offset0:14 offset1:15
	v_pk_mul_f32 v[132:133], v[160:161], s[14:15]
	v_pk_add_f32 v[84:85], v[86:87], v[84:85]
	v_pk_fma_f32 v[86:87], v[48:49], s[46:47], v[98:99] op_sel_hi:[0,1,1]
	v_mov_b32_e32 v151, v124
	v_mov_b32_e32 v157, v126
	;; [unrolled: 1-line block ×3, first 2 shown]
	v_pk_add_f32 v[84:85], v[86:87], v[84:85]
	v_pk_fma_f32 v[86:87], v[50:51], s[48:49], v[100:101] op_sel_hi:[0,1,1]
	v_pk_fma_f32 v[148:149], v[148:149], s[0:1], v[150:151]
	v_pk_fma_f32 v[150:151], v[152:153], s[10:11], v[156:157]
	;; [unrolled: 1-line block ×3, first 2 shown]
	v_pk_add_f32 v[160:161], v[2:3], v[60:61]
	v_mov_b32_e32 v80, v2
	v_mov_b32_e32 v170, v4
	v_pk_add_f32 v[84:85], v[86:87], v[84:85]
	v_mul_f32_e32 v2, 0x3f6eb680, v22
	v_mul_f32_e32 v4, 0x3eb8f4ab, v31
	ds_write2_b32 v169, v84, v85 offset0:6 offset1:7
	v_pk_add_f32 v[84:85], v[2:3], v[4:5]
	v_pk_add_f32 v[86:87], v[2:3], v[4:5] neg_lo:[0,1] neg_hi:[0,1]
	v_mul_f32_e32 v2, 0xbf59a7d5, v26
	v_mul_f32_e32 v4, 0xbf06c442, v35
	v_mov_b32_e32 v85, v86
	v_pk_add_f32 v[86:87], v[2:3], v[4:5]
	v_pk_add_f32 v[88:89], v[2:3], v[4:5] neg_lo:[0,1] neg_hi:[0,1]
	v_mul_f32_e32 v2, 0x3f3d2fb0, v28
	v_mul_f32_e32 v4, 0x3f2c7751, v37
	v_mov_b32_e32 v87, v88
	;; [unrolled: 5-line block ×3, first 2 shown]
	v_mov_b32_e32 v137, v22
	ds_write2_b32 v169, v38, v131 offset0:10 offset1:11
	v_add_f32_e32 v38, v39, v1
	v_mov_b32_e32 v89, v90
	v_pk_add_f32 v[90:91], v[2:3], v[4:5]
	v_pk_add_f32 v[94:95], v[2:3], v[4:5] neg_lo:[0,1] neg_hi:[0,1]
	v_mul_f32_e32 v2, 0x3ee437d1, v46
	v_mul_f32_e32 v4, 0x3f65296c, v55
	v_pk_mul_f32 v[122:123], v[136:137], s[22:23]
	v_add_f32_e32 v38, v69, v38
	v_mov_b32_e32 v172, v57
	v_mov_b32_e32 v173, v48
	;; [unrolled: 1-line block ×3, first 2 shown]
	v_pk_add_f32 v[94:95], v[2:3], v[4:5]
	v_pk_add_f32 v[96:97], v[2:3], v[4:5] neg_lo:[0,1] neg_hi:[0,1]
	v_mul_f32_e32 v2, 0xbe8c1d8e, v48
	v_mul_f32_e32 v4, 0xbf763a35, v57
	v_mov_b32_e32 v147, v122
	v_add_f32_e32 v38, v71, v38
	v_pk_mul_f32 v[68:69], v[172:173], s[6:7]
	v_mov_b32_e32 v95, v96
	v_pk_add_f32 v[96:97], v[2:3], v[4:5]
	v_pk_add_f32 v[98:99], v[2:3], v[4:5] neg_lo:[0,1] neg_hi:[0,1]
	v_mul_f32_e32 v2, 0x3dbcf732, v50
	v_mul_f32_e32 v4, 0x3f7ee86f, v59
	v_add_f32_e32 v40, v81, v38
	v_pk_fma_f32 v[146:147], v[136:137], s[22:23], v[146:147]
	v_mov_b32_e32 v137, v68
	v_mov_b32_e32 v81, 0x3f6eb680
	;; [unrolled: 1-line block ×3, first 2 shown]
	v_pk_add_f32 v[98:99], v[2:3], v[4:5]
	v_pk_add_f32 v[100:101], v[2:3], v[4:5] neg_lo:[0,1] neg_hi:[0,1]
	v_mul_f32_e32 v2, 0xbf7ba420, v61
	v_mul_f32_e32 v4, 0xbe3c28d5, v25
	v_pk_fma_f32 v[156:157], v[172:173], s[6:7], v[136:137]
	v_pk_mul_f32 v[136:137], v[80:81], v[60:61]
	v_pk_fma_f32 v[118:119], v[60:61], s[74:75], v[118:119] op_sel:[1,0,0]
	v_pk_fma_f32 v[102:103], v[60:61], s[52:53], v[102:103] op_sel:[1,0,0]
	v_mov_b32_e32 v99, v100
	v_pk_add_f32 v[60:61], v[2:3], v[4:5]
	v_pk_add_f32 v[100:101], v[2:3], v[4:5] neg_lo:[0,1] neg_hi:[0,1]
	v_mov_b32_e32 v154, v53
	v_mov_b32_e32 v155, v44
	;; [unrolled: 1-line block ×3, first 2 shown]
	v_pk_mul_f32 v[130:131], v[154:155], s[12:13]
	v_pk_add_f32 v[60:61], v[60:61], v[0:1] op_sel_hi:[1,0]
	v_mov_b32_e32 v38, v43
	v_add_f32_e32 v40, v41, v40
	v_mov_b32_e32 v41, v21
	v_mov_b32_e32 v159, v130
	;; [unrolled: 1-line block ×3, first 2 shown]
	v_mul_f32_e32 v171, 0xbeb8f4ab, v25
	v_pk_add_f32 v[60:61], v[84:85], v[60:61]
	v_pk_add_f32 v[84:85], v[38:39], v[40:41]
	v_pk_fma_f32 v[154:155], v[154:155], s[12:13], v[158:159]
	v_pk_add_f32 v[160:161], v[170:171], v[160:161]
	v_mov_b32_e32 v170, v10
	v_mov_b32_e32 v171, v0
	v_pk_fma_f32 v[38:39], v[84:85], s[38:39], v[64:65] op_sel:[1,0,0]
	v_fmac_f32_e32 v137, 0x3eb8f4ab, v25
	v_pk_add_f32 v[160:161], v[170:171], v[160:161]
	v_mov_b32_e32 v146, v8
	v_mov_b32_e32 v154, v16
	v_pk_fma_f32 v[120:121], v[22:23], s[72:73], v[120:121] op_sel_hi:[0,1,1]
	v_pk_add_f32 v[118:119], v[118:119], v[0:1] op_sel_hi:[1,0]
	v_pk_fma_f32 v[104:105], v[22:23], s[50:51], v[104:105] op_sel_hi:[0,1,1]
	v_pk_add_f32 v[102:103], v[102:103], v[0:1] op_sel_hi:[1,0]
	v_pk_add_f32 v[38:39], v[38:39], v[0:1] op_sel:[0,1]
	v_pk_fma_f32 v[40:41], v[22:23], s[30:31], v[66:67] op_sel:[1,0,0]
	v_sub_f32_e32 v2, v123, v122
	v_add_f32_e32 v16, v137, v0
	v_pk_add_f32 v[160:161], v[146:147], v[160:161]
	v_mov_b32_e32 v148, v6
	v_pk_add_f32 v[118:119], v[120:121], v[118:119]
	v_pk_fma_f32 v[120:121], v[26:27], s[76:77], v[128:129] op_sel_hi:[0,1,1]
	v_pk_add_f32 v[102:103], v[104:105], v[102:103]
	v_pk_fma_f32 v[104:105], v[26:27], s[54:55], v[106:107] op_sel_hi:[0,1,1]
	v_pk_add_f32 v[60:61], v[86:87], v[60:61]
	v_pk_add_f32 v[38:39], v[40:41], v[38:39]
	v_pk_fma_f32 v[40:41], v[26:27], s[34:35], v[72:73] op_sel:[1,0,0]
	v_sub_f32_e32 v4, v125, v124
	v_add_f32_e32 v2, v2, v16
	v_mov_b32_e32 v174, v59
	v_mov_b32_e32 v175, v50
	v_pk_add_f32 v[148:149], v[148:149], v[160:161]
	v_mov_b32_e32 v150, v18
	v_pk_add_f32 v[118:119], v[120:121], v[118:119]
	v_pk_fma_f32 v[120:121], v[28:29], s[80:81], v[134:135] op_sel_hi:[0,1,1]
	v_pk_add_f32 v[102:103], v[104:105], v[102:103]
	v_pk_fma_f32 v[104:105], v[28:29], s[56:57], v[108:109] op_sel_hi:[0,1,1]
	v_pk_add_f32 v[60:61], v[88:89], v[60:61]
	v_pk_add_f32 v[38:39], v[40:41], v[38:39]
	v_pk_fma_f32 v[40:41], v[28:29], s[36:37], v[74:75] op_sel:[1,0,0]
	v_sub_f32_e32 v6, v127, v126
	v_add_f32_e32 v2, v4, v2
	v_pk_mul_f32 v[70:71], v[174:175], s[24:25]
	v_pk_add_f32 v[148:149], v[150:151], v[148:149]
	v_pk_add_f32 v[118:119], v[120:121], v[118:119]
	v_pk_fma_f32 v[120:121], v[44:45], s[82:83], v[138:139] op_sel_hi:[0,1,1]
	v_pk_add_f32 v[102:103], v[104:105], v[102:103]
	v_pk_fma_f32 v[104:105], v[44:45], s[58:59], v[110:111] op_sel_hi:[0,1,1]
	v_pk_add_f32 v[60:61], v[90:91], v[60:61]
	v_pk_add_f32 v[38:39], v[40:41], v[38:39]
	v_pk_fma_f32 v[40:41], v[44:45], s[42:43], v[76:77] op_sel:[1,0,0]
	v_sub_f32_e32 v8, v131, v130
	v_add_f32_e32 v2, v6, v2
	v_mov_b32_e32 v159, v70
	v_pk_add_f32 v[148:149], v[154:155], v[148:149]
	v_mov_b32_e32 v152, v14
	v_pk_add_f32 v[118:119], v[120:121], v[118:119]
	v_pk_fma_f32 v[120:121], v[46:47], s[2:3], v[140:141] op_sel_hi:[0,1,1]
	v_pk_add_f32 v[102:103], v[104:105], v[102:103]
	v_pk_fma_f32 v[104:105], v[46:47], s[60:61], v[112:113] op_sel_hi:[0,1,1]
	v_pk_add_f32 v[60:61], v[94:95], v[60:61]
	v_pk_add_f32 v[38:39], v[40:41], v[38:39]
	v_pk_fma_f32 v[40:41], v[46:47], s[44:45], v[78:79] op_sel:[1,0,0]
	v_sub_f32_e32 v10, v133, v132
	v_add_f32_e32 v2, v8, v2
	v_pk_fma_f32 v[158:159], v[174:175], s[24:25], v[158:159]
	v_pk_add_f32 v[148:149], v[152:153], v[148:149]
	v_mov_b32_e32 v156, v12
	v_pk_add_f32 v[118:119], v[120:121], v[118:119]
	v_pk_fma_f32 v[120:121], v[48:49], s[86:87], v[142:143] op_sel_hi:[0,1,1]
	v_pk_add_f32 v[102:103], v[104:105], v[102:103]
	v_pk_fma_f32 v[104:105], v[48:49], s[62:63], v[114:115] op_sel_hi:[0,1,1]
	v_pk_add_f32 v[60:61], v[96:97], v[60:61]
	v_pk_add_f32 v[38:39], v[40:41], v[38:39]
	v_pk_fma_f32 v[40:41], v[48:49], s[46:47], v[82:83] op_sel:[1,0,0]
	v_sub_f32_e32 v12, v69, v68
	v_add_f32_e32 v2, v10, v2
	v_pk_add_f32 v[148:149], v[156:157], v[148:149]
	v_mov_b32_e32 v158, v20
	v_pk_add_f32 v[118:119], v[120:121], v[118:119]
	v_pk_fma_f32 v[120:121], v[50:51], s[88:89], v[144:145] op_sel_hi:[0,1,1]
	v_pk_add_f32 v[102:103], v[104:105], v[102:103]
	v_pk_fma_f32 v[104:105], v[50:51], s[64:65], v[116:117] op_sel_hi:[0,1,1]
	v_pk_add_f32 v[60:61], v[98:99], v[60:61]
	v_pk_add_f32 v[38:39], v[40:41], v[38:39]
	v_pk_fma_f32 v[40:41], v[50:51], s[48:49], v[92:93] op_sel:[1,0,0]
	v_sub_f32_e32 v14, v71, v70
	v_add_f32_e32 v2, v12, v2
	v_lshlrev_b32_e32 v98, 6, v162
	v_pk_add_f32 v[148:149], v[158:159], v[148:149]
	v_pk_add_f32 v[118:119], v[120:121], v[118:119]
	;; [unrolled: 1-line block ×4, first 2 shown]
	v_add_f32_e32 v2, v14, v2
	v_sub_u32_e32 v99, v169, v98
	v_lshl_add_u32 v96, v168, 2, 0
	v_lshl_add_u32 v39, v163, 2, 0
	v_pk_mul_f32 v[146:147], v[30:31], s[96:97] op_sel_hi:[0,1]
	ds_write2_b32 v169, v148, v149 offset1:1
	ds_write2_b32 v169, v118, v119 offset0:2 offset1:3
	ds_write2_b32 v169, v102, v103 offset0:4 offset1:5
	;; [unrolled: 1-line block ×3, first 2 shown]
	ds_write_b32 v169, v2 offset:64
	s_waitcnt lgkmcnt(0)
	; wave barrier
	s_waitcnt lgkmcnt(0)
	v_lshl_add_u32 v97, v165, 2, 0
	v_lshl_add_u32 v95, v166, 2, 0
	;; [unrolled: 1-line block ×3, first 2 shown]
	ds_read_b32 v108, v96
	ds_read_b32 v107, v97
	;; [unrolled: 1-line block ×4, first 2 shown]
	v_add_u32_e32 v100, 0x400, v99
	v_add_u32_e32 v102, 0x600, v99
	;; [unrolled: 1-line block ×3, first 2 shown]
	ds_read_b32 v104, v39
	ds_read_b32 v103, v99 offset:3264
	ds_read_b32 v38, v99
	ds_read2_b32 v[70:71], v100 offset0:50 offset1:101
	ds_read2_b32 v[68:69], v100 offset0:152 offset1:203
	;; [unrolled: 1-line block ×5, first 2 shown]
	s_waitcnt lgkmcnt(0)
	; wave barrier
	s_waitcnt lgkmcnt(0)
	ds_write2_b32 v169, v87, v86 offset0:10 offset1:11
	v_pk_fma_f32 v[86:87], v[84:85], s[52:53], v[62:63] op_sel:[1,0,0]
	v_pk_fma_f32 v[88:89], v[22:23], s[50:51], v[146:147] op_sel:[1,0,0]
	v_pk_add_f32 v[86:87], v[86:87], v[0:1] op_sel:[0,1]
	v_mov_b32_e32 v120, v27
	v_pk_add_f32 v[88:89], v[88:89], v[86:87]
	v_pk_mul_f32 v[86:87], v[34:35], s[94:95] op_sel_hi:[0,1]
	v_pk_fma_f32 v[90:91], v[26:27], s[54:55], v[86:87] op_sel:[1,0,0]
	v_mov_b32_e32 v121, v34
	v_pk_add_f32 v[90:91], v[90:91], v[88:89]
	v_pk_mul_f32 v[88:89], v[36:37], s[92:93] op_sel_hi:[0,1]
	v_pk_fma_f32 v[110:111], v[28:29], s[56:57], v[88:89] op_sel:[1,0,0]
	;; [unrolled: 4-line block ×5, first 2 shown]
	s_mov_b32 s40, s23
	v_pk_add_f32 v[90:91], v[116:117], v[90:91]
	v_pk_mul_f32 v[116:117], v[58:59], s[70:71] op_sel_hi:[0,1]
	v_pk_fma_f32 v[118:119], v[50:51], s[64:65], v[116:117] op_sel:[1,0,0]
	s_mov_b32 s41, s22
	v_pk_add_f32 v[90:91], v[118:119], v[90:91]
	ds_write2_b32 v169, v91, v90 offset0:12 offset1:13
	v_mov_b32_e32 v90, v23
	v_mov_b32_e32 v91, v30
	v_pk_mul_f32 v[118:119], v[90:91], s[40:41]
	v_mov_b32_e32 v129, v52
	v_mov_b32_e32 v109, v118
	v_pk_fma_f32 v[90:91], v[90:91], s[40:41], v[108:109] neg_lo:[1,0,0] neg_hi:[1,0,0]
	s_mov_b32 s40, s1
	s_mov_b32 s41, s0
	v_pk_mul_f32 v[122:123], v[120:121], s[40:41]
	v_mov_b32_e32 v80, v3
	v_mov_b32_e32 v109, v122
	v_pk_fma_f32 v[120:121], v[120:121], s[40:41], v[108:109] neg_lo:[1,0,0] neg_hi:[1,0,0]
	s_mov_b32 s40, s11
	s_mov_b32 s41, s10
	;; [unrolled: 6-line block ×4, first 2 shown]
	v_pk_add_f32 v[2:3], v[80:81], v[84:85]
	v_mov_b32_e32 v4, v5
	v_pk_mul_f32 v[134:135], v[132:133], s[40:41]
	v_pk_add_f32 v[2:3], v[2:3], v[4:5] op_sel_hi:[1,0]
	v_mul_f32_e32 v5, 0xbeb8f4ab, v24
	v_mov_b32_e32 v109, v134
	v_pk_fma_f32 v[4:5], v[80:81], v[84:85], v[4:5] neg_lo:[0,0,1] neg_hi:[0,0,1]
	v_pk_fma_f32 v[132:133], v[132:133], s[40:41], v[108:109] neg_lo:[1,0,0] neg_hi:[1,0,0]
	v_mov_b32_e32 v136, v49
	v_mov_b32_e32 v137, v56
	s_mov_b32 s40, s7
	s_mov_b32 s41, s6
	v_mov_b32_e32 v3, v5
	v_mov_b32_e32 v4, v11
	;; [unrolled: 1-line block ×3, first 2 shown]
	v_pk_mul_f32 v[138:139], v[136:137], s[40:41]
	v_pk_add_f32 v[2:3], v[4:5], v[2:3]
	v_mov_b32_e32 v90, v9
	v_mov_b32_e32 v109, v138
	v_pk_add_f32 v[2:3], v[90:91], v[2:3]
	v_mov_b32_e32 v120, v7
	v_pk_fma_f32 v[136:137], v[136:137], s[40:41], v[108:109] neg_lo:[1,0,0] neg_hi:[1,0,0]
	v_mov_b32_e32 v140, v51
	v_mov_b32_e32 v141, v58
	s_mov_b32 s40, s25
	s_mov_b32 s41, s24
	v_pk_add_f32 v[2:3], v[120:121], v[2:3]
	v_mov_b32_e32 v124, v19
	v_pk_mul_f32 v[142:143], v[140:141], s[40:41]
	v_pk_add_f32 v[2:3], v[124:125], v[2:3]
	v_mov_b32_e32 v128, v17
	v_mov_b32_e32 v109, v142
	v_pk_add_f32 v[2:3], v[128:129], v[2:3]
	v_mov_b32_e32 v132, v15
	v_pk_fma_f32 v[140:141], v[140:141], s[40:41], v[108:109] neg_lo:[1,0,0] neg_hi:[1,0,0]
	v_pk_add_f32 v[2:3], v[132:133], v[2:3]
	v_mov_b32_e32 v136, v13
	v_pk_add_f32 v[2:3], v[136:137], v[2:3]
	v_mov_b32_e32 v140, v21
	v_pk_add_f32 v[2:3], v[140:141], v[2:3]
	ds_write2_b32 v169, v2, v3 offset1:1
	v_pk_mul_f32 v[2:3], v[24:25], s[78:79] op_sel_hi:[0,1]
	v_pk_fma_f32 v[4:5], v[84:85], s[74:75], v[2:3] op_sel:[1,0,0] neg_lo:[0,0,1] neg_hi:[0,0,1]
	v_pk_mul_f32 v[6:7], v[30:31], s[84:85] op_sel_hi:[0,1]
	v_pk_add_f32 v[4:5], v[4:5], v[0:1] op_sel:[0,1]
	v_pk_fma_f32 v[8:9], v[22:23], s[72:73], v[6:7] op_sel:[1,0,0] neg_lo:[0,0,1] neg_hi:[0,0,1]
	v_pk_fma_f32 v[6:7], v[22:23], s[72:73], v[6:7] op_sel:[1,0,0]
	v_pk_add_f32 v[4:5], v[8:9], v[4:5]
	v_pk_mul_f32 v[8:9], v[34:35], s[90:91] op_sel_hi:[0,1]
	v_pk_fma_f32 v[10:11], v[26:27], s[76:77], v[8:9] op_sel:[1,0,0] neg_lo:[0,0,1] neg_hi:[0,0,1]
	v_pk_fma_f32 v[2:3], v[84:85], s[74:75], v[2:3] op_sel:[1,0,0]
	v_pk_add_f32 v[4:5], v[10:11], v[4:5]
	v_pk_mul_f32 v[10:11], v[36:37], s[20:21] op_sel_hi:[0,1]
	v_pk_fma_f32 v[12:13], v[28:29], s[80:81], v[10:11] op_sel:[1,0,0] neg_lo:[0,0,1] neg_hi:[0,0,1]
	s_mov_b32 s20, s14
	v_pk_add_f32 v[4:5], v[12:13], v[4:5]
	v_pk_mul_f32 v[12:13], v[52:53], s[28:29] op_sel_hi:[0,1]
	v_pk_fma_f32 v[14:15], v[44:45], s[82:83], v[12:13] op_sel:[1,0,0] neg_lo:[0,0,1] neg_hi:[0,0,1]
	s_nop 0
	v_pk_add_f32 v[4:5], v[14:15], v[4:5]
	v_pk_mul_f32 v[14:15], v[54:55], s[18:19] op_sel_hi:[0,1]
	v_pk_fma_f32 v[16:17], v[46:47], s[2:3], v[14:15] op_sel:[1,0,0] neg_lo:[0,0,1] neg_hi:[0,0,1]
	s_mov_b32 s18, s19
	v_pk_add_f32 v[4:5], v[16:17], v[4:5]
	v_pk_mul_f32 v[16:17], v[56:57], s[16:17] op_sel_hi:[0,1]
	v_pk_fma_f32 v[18:19], v[48:49], s[86:87], v[16:17] op_sel:[1,0,0] neg_lo:[0,0,1] neg_hi:[0,0,1]
	s_mov_b32 s19, s22
	v_pk_add_f32 v[4:5], v[18:19], v[4:5]
	v_pk_mul_f32 v[18:19], v[58:59], s[26:27] op_sel_hi:[0,1]
	v_pk_fma_f32 v[20:21], v[50:51], s[88:89], v[18:19] op_sel:[1,0,0] neg_lo:[0,0,1] neg_hi:[0,0,1]
	s_nop 0
	v_pk_add_f32 v[4:5], v[20:21], v[4:5]
	v_pk_fma_f32 v[20:21], v[84:85], s[52:53], v[62:63] op_sel:[1,0,0] neg_lo:[0,0,1] neg_hi:[0,0,1]
	ds_write2_b32 v169, v4, v5 offset0:2 offset1:3
	v_pk_fma_f32 v[4:5], v[22:23], s[50:51], v[146:147] op_sel:[1,0,0] neg_lo:[0,0,1] neg_hi:[0,0,1]
	v_pk_add_f32 v[20:21], v[20:21], v[0:1] op_sel:[0,1]
	s_nop 0
	v_pk_add_f32 v[4:5], v[4:5], v[20:21]
	v_pk_fma_f32 v[20:21], v[26:27], s[54:55], v[86:87] op_sel:[1,0,0] neg_lo:[0,0,1] neg_hi:[0,0,1]
	s_nop 0
	v_pk_add_f32 v[4:5], v[20:21], v[4:5]
	v_pk_fma_f32 v[20:21], v[28:29], s[56:57], v[88:89] op_sel:[1,0,0] neg_lo:[0,0,1] neg_hi:[0,0,1]
	;; [unrolled: 3-line block ×7, first 2 shown]
	ds_write2_b32 v169, v4, v5 offset0:4 offset1:5
	v_pk_fma_f32 v[4:5], v[22:23], s[30:31], v[66:67] op_sel:[1,0,0] neg_lo:[0,0,1] neg_hi:[0,0,1]
	v_pk_add_f32 v[20:21], v[20:21], v[0:1] op_sel:[0,1]
	v_add_f32_e32 v22, v130, v131
	v_pk_add_f32 v[4:5], v[4:5], v[20:21]
	v_pk_fma_f32 v[20:21], v[26:27], s[34:35], v[72:73] op_sel:[1,0,0] neg_lo:[0,0,1] neg_hi:[0,0,1]
	s_mov_b32 s30, s3
	v_pk_add_f32 v[4:5], v[20:21], v[4:5]
	v_pk_fma_f32 v[20:21], v[28:29], s[36:37], v[74:75] op_sel:[1,0,0] neg_lo:[0,0,1] neg_hi:[0,0,1]
	s_mov_b32 s31, s23
	v_pk_add_f32 v[4:5], v[20:21], v[4:5]
	v_pk_fma_f32 v[20:21], v[44:45], s[42:43], v[76:77] op_sel:[1,0,0] neg_lo:[0,0,1] neg_hi:[0,0,1]
	s_nop 0
	v_pk_add_f32 v[4:5], v[20:21], v[4:5]
	v_pk_fma_f32 v[20:21], v[46:47], s[44:45], v[78:79] op_sel:[1,0,0] neg_lo:[0,0,1] neg_hi:[0,0,1]
	s_nop 0
	;; [unrolled: 3-line block ×4, first 2 shown]
	v_pk_add_f32 v[4:5], v[20:21], v[4:5]
	ds_write2_b32 v169, v4, v5 offset0:6 offset1:7
	v_mul_f32_e32 v4, 0x3eb8f4ab, v30
	v_mul_f32_e32 v20, 0x3f6eb680, v23
	v_pk_add_f32 v[30:31], v[20:21], v[4:5] neg_lo:[0,1] neg_hi:[0,1]
	v_pk_add_f32 v[4:5], v[20:21], v[4:5]
	v_mul_f32_e32 v20, 0xbf59a7d5, v27
	v_mov_b32_e32 v31, v4
	v_mul_f32_e32 v4, 0xbf06c442, v34
	v_pk_add_f32 v[34:35], v[20:21], v[4:5] neg_lo:[0,1] neg_hi:[0,1]
	v_pk_add_f32 v[4:5], v[20:21], v[4:5]
	v_mul_f32_e32 v20, 0x3f3d2fb0, v29
	v_mov_b32_e32 v35, v4
	;; [unrolled: 5-line block ×7, first 2 shown]
	v_pk_mul_f32 v[4:5], v[80:81], v[84:85]
	v_add_f32_e32 v23, v134, v135
	v_fmac_f32_e32 v5, 0xbeb8f4ab, v24
	v_mul_f32_e32 v4, 0xbe3c28d5, v24
	v_pk_add_f32 v[24:25], v[20:21], v[4:5] neg_lo:[0,1] neg_hi:[0,1]
	v_pk_add_f32 v[20:21], v[20:21], v[4:5]
	v_add_f32_e32 v4, v118, v119
	v_mov_b32_e32 v25, v20
	v_pk_add_f32 v[20:21], v[24:25], v[0:1] op_sel:[0,1]
	v_add_f32_e32 v5, v5, v1
	v_pk_add_f32 v[20:21], v[30:31], v[20:21]
	v_add_f32_e32 v4, v4, v5
	v_pk_add_f32 v[20:21], v[34:35], v[20:21]
	;; [unrolled: 2-line block ×4, first 2 shown]
	v_pk_add_f32 v[0:1], v[2:3], v[0:1] op_sel:[0,1]
	v_pk_add_f32 v[20:21], v[54:55], v[20:21]
	v_pk_add_f32 v[0:1], v[6:7], v[0:1]
	;; [unrolled: 1-line block ×3, first 2 shown]
	s_nop 0
	v_pk_add_f32 v[20:21], v[58:59], v[20:21]
	ds_write2_b32 v169, v20, v21 offset0:8 offset1:9
	v_add_f32_e32 v20, v122, v123
	v_add_f32_e32 v21, v126, v127
	;; [unrolled: 1-line block ×8, first 2 shown]
	v_pk_fma_f32 v[4:5], v[26:27], s[76:77], v[8:9] op_sel:[1,0,0]
	v_pk_fma_f32 v[8:9], v[28:29], s[80:81], v[10:11] op_sel:[1,0,0]
	v_pk_add_f32 v[0:1], v[4:5], v[0:1]
	v_pk_fma_f32 v[10:11], v[44:45], s[82:83], v[12:13] op_sel:[1,0,0]
	v_pk_add_f32 v[0:1], v[8:9], v[0:1]
	;; [unrolled: 2-line block ×5, first 2 shown]
	s_movk_i32 s2, 0xf1
	v_pk_add_f32 v[0:1], v[16:17], v[0:1]
	ds_write2_b32 v169, v1, v0 offset0:14 offset1:15
	ds_write_b32 v169, v20 offset:64
	v_mul_lo_u16_sdwa v0, v162, s2 dst_sel:DWORD dst_unused:UNUSED_PAD src0_sel:BYTE_0 src1_sel:DWORD
	v_lshrrev_b16_e32 v35, 12, v0
	v_mul_lo_u16_e32 v0, 17, v35
	v_sub_u16_e32 v44, v162, v0
	v_mov_b32_e32 v0, 7
	v_lshlrev_b32_sdwa v34, v0, v44 dst_sel:DWORD dst_unused:UNUSED_PAD src0_sel:DWORD src1_sel:BYTE_0
	s_waitcnt lgkmcnt(0)
	; wave barrier
	s_waitcnt lgkmcnt(0)
	global_load_dwordx4 v[12:15], v34, s[4:5]
	global_load_dwordx4 v[8:11], v34, s[4:5] offset:16
	global_load_dwordx4 v[4:7], v34, s[4:5] offset:32
	;; [unrolled: 1-line block ×7, first 2 shown]
	ds_read_b32 v49, v96
	ds_read_b32 v48, v97
	;; [unrolled: 1-line block ×5, first 2 shown]
	ds_read2_b32 v[36:37], v100 offset0:50 offset1:101
	ds_read_b32 v50, v99 offset:3264
	ds_read_b32 v34, v99
	s_mov_b32 s2, s25
	v_mul_u32_u24_e32 v35, 0x484, v35
	s_waitcnt vmcnt(7) lgkmcnt(7)
	v_mul_f32_e32 v62, v49, v13
	s_waitcnt vmcnt(6) lgkmcnt(5)
	v_mul_f32_e32 v56, v47, v9
	v_mul_f32_e32 v9, v106, v9
	v_fmac_f32_e32 v56, v106, v8
	v_fma_f32 v57, v47, v8, -v9
	v_mul_f32_e32 v8, v105, v11
	s_waitcnt lgkmcnt(4)
	v_fma_f32 v55, v46, v10, -v8
	ds_read2_b32 v[8:9], v100 offset0:152 offset1:203
	s_waitcnt vmcnt(5) lgkmcnt(4)
	v_mul_f32_e32 v51, v45, v5
	v_mul_f32_e32 v5, v104, v5
	v_fmac_f32_e32 v51, v104, v4
	v_fma_f32 v52, v45, v4, -v5
	v_mul_f32_e32 v4, v70, v7
	v_mul_f32_e32 v54, v46, v11
	s_waitcnt lgkmcnt(3)
	v_mul_f32_e32 v46, v36, v7
	v_fma_f32 v47, v36, v6, -v4
	s_waitcnt vmcnt(4)
	v_mul_f32_e32 v36, v37, v1
	v_mul_f32_e32 v1, v71, v1
	v_fmac_f32_e32 v36, v71, v0
	v_fma_f32 v37, v37, v0, -v1
	v_mul_f32_e32 v0, v68, v3
	s_waitcnt lgkmcnt(0)
	v_mul_f32_e32 v7, v8, v3
	v_fma_f32 v3, v8, v2, -v0
	ds_read2_b32 v[0:1], v102 offset0:126 offset1:177
	v_mul_f32_e32 v13, v108, v13
	v_fmac_f32_e32 v7, v68, v2
	s_waitcnt vmcnt(3)
	v_mul_f32_e32 v2, v69, v21
	v_fmac_f32_e32 v62, v108, v12
	v_fma_f32 v63, v49, v12, -v13
	v_mul_f32_e32 v58, v48, v15
	v_mul_f32_e32 v12, v107, v15
	;; [unrolled: 1-line block ×3, first 2 shown]
	v_fma_f32 v15, v9, v20, -v2
	ds_read2_b32 v[4:5], v101 offset0:100 offset1:151
	ds_read2_b32 v[8:9], v101 offset0:202 offset1:253
	v_mul_f32_e32 v2, v60, v23
	s_waitcnt lgkmcnt(2)
	v_mul_f32_e32 v45, v0, v23
	v_fma_f32 v23, v0, v22, -v2
	s_waitcnt vmcnt(2)
	v_mul_f32_e32 v0, v61, v17
	v_fma_f32 v49, v1, v16, -v0
	s_waitcnt lgkmcnt(1)
	v_mul_f32_e32 v53, v4, v19
	v_mul_f32_e32 v0, v42, v19
	v_fmac_f32_e32 v53, v42, v18
	v_fma_f32 v19, v4, v18, -v0
	s_waitcnt vmcnt(1)
	v_mul_f32_e32 v42, v5, v25
	v_mul_f32_e32 v0, v43, v25
	v_fmac_f32_e32 v42, v43, v24
	v_fma_f32 v25, v5, v24, -v0
	s_waitcnt lgkmcnt(0)
	v_mul_f32_e32 v43, v8, v27
	v_mul_f32_e32 v0, v40, v27
	v_fmac_f32_e32 v45, v60, v22
	v_fmac_f32_e32 v43, v40, v26
	v_fma_f32 v40, v8, v26, -v0
	s_waitcnt vmcnt(0)
	v_mul_f32_e32 v60, v9, v29
	v_mul_f32_e32 v0, v41, v29
	v_fmac_f32_e32 v60, v41, v28
	v_fma_f32 v28, v9, v28, -v0
	v_mul_f32_e32 v0, v103, v31
	v_mul_f32_e32 v24, v50, v31
	v_fma_f32 v26, v50, v30, -v0
	v_fmac_f32_e32 v24, v103, v30
	v_sub_f32_e32 v2, v63, v26
	v_fma_f32 v59, v48, v14, -v12
	v_mul_f32_e32 v48, v1, v17
	v_add_f32_e32 v0, v62, v24
	v_mul_f32_e32 v1, 0xbf65296c, v2
	v_fmac_f32_e32 v54, v105, v10
	v_fmac_f32_e32 v46, v70, v6
	v_fmamk_f32 v6, v0, 0x3ee437d1, v1
	v_fma_f32 v10, v0, s1, -v1
	v_mul_f32_e32 v1, 0xbf7ee86f, v2
	v_fmac_f32_e32 v58, v107, v14
	v_fmac_f32_e32 v48, v61, v16
	v_fmamk_f32 v14, v0, 0x3dbcf732, v1
	v_fma_f32 v16, v0, s11, -v1
	v_mul_f32_e32 v1, 0xbf763a35, v2
	v_fmamk_f32 v17, v0, 0xbe8c1d8e, v1
	v_fma_f32 v18, v0, s13, -v1
	v_mul_f32_e32 v1, 0xbf4c4adb, v2
	v_fmac_f32_e32 v11, v69, v20
	v_fmamk_f32 v20, v0, 0xbf1a4643, v1
	v_fma_f32 v21, v0, s15, -v1
	v_mul_f32_e32 v1, 0xbf06c442, v2
	v_fmamk_f32 v22, v0, 0xbf59a7d5, v1
	v_fma_f32 v27, v0, s7, -v1
	v_mul_f32_e32 v1, 0xbe3c28d5, v2
	v_pk_mul_f32 v[4:5], v[2:3], s[18:19] op_sel_hi:[0,1]
	v_pk_fma_f32 v[8:9], v[0:1], s[30:31], v[4:5] op_sel_hi:[0,1,1]
	v_fmamk_f32 v29, v0, 0xbf7ba420, v1
	v_fma_f32 v30, v0, s25, -v1
	v_pk_fma_f32 v[0:1], v[0:1], s[30:31], v[4:5] op_sel_hi:[0,1,1] neg_lo:[0,0,1] neg_hi:[0,0,1]
	v_add_f32_e32 v5, v38, v8
	s_mov_b32 s30, s22
	s_mov_b32 s31, s10
	v_sub_f32_e32 v4, v59, v28
	v_add_f32_e32 v31, v38, v9
	s_mov_b32 s18, s23
	s_mov_b32 s19, s11
	v_add_f32_e32 v2, v58, v60
	v_pk_mul_f32 v[8:9], v[4:5], s[30:31] op_sel_hi:[0,1]
	v_pk_fma_f32 v[12:13], v[2:3], s[18:19], v[8:9] op_sel_hi:[0,1,1]
	v_add_f32_e32 v41, v12, v5
	v_add_f32_e32 v31, v13, v31
	v_mul_f32_e32 v5, 0xbf4c4adb, v4
	v_mul_f32_e32 v12, 0xbe3c28d5, v4
	;; [unrolled: 1-line block ×6, first 2 shown]
	v_fmamk_f32 v64, v2, 0xbf1a4643, v5
	v_fma_f32 v65, v2, s15, -v5
	v_fmamk_f32 v72, v2, 0x3f6eb680, v4
	v_fma_f32 v73, v2, s3, -v4
	v_pk_fma_f32 v[4:5], v[2:3], s[18:19], v[8:9] op_sel_hi:[0,1,1] neg_lo:[0,0,1] neg_hi:[0,0,1]
	v_pk_add_f32 v[0:1], v[38:39], v[0:1] op_sel_hi:[0,1]
	v_pk_add_f32 v[0:1], v[4:5], v[0:1]
	s_mov_b32 s30, s0
	s_mov_b32 s31, s14
	v_sub_f32_e32 v4, v57, v40
	v_fmamk_f32 v66, v2, 0xbf7ba420, v12
	v_fma_f32 v67, v2, s25, -v12
	v_fmamk_f32 v68, v2, 0xbf59a7d5, v13
	v_fma_f32 v69, v2, s7, -v13
	v_fmamk_f32 v70, v2, 0xbe8c1d8e, v50
	v_fma_f32 v50, v2, s13, -v50
	v_fmamk_f32 v71, v2, 0x3ee437d1, v61
	v_fma_f32 v61, v2, s1, -v61
	s_mov_b32 s18, s1
	s_mov_b32 s19, s15
	v_add_f32_e32 v2, v56, v43
	v_pk_mul_f32 v[8:9], v[4:5], s[30:31] op_sel_hi:[0,1]
	v_pk_fma_f32 v[12:13], v[2:3], s[18:19], v[8:9] op_sel_hi:[0,1,1]
	v_add_f32_e32 v41, v12, v41
	v_add_f32_e32 v31, v13, v31
	v_mul_f32_e32 v5, 0x3e3c28d5, v4
	v_mul_f32_e32 v12, 0x3f763a35, v4
	v_mul_f32_e32 v13, 0x3f2c7751, v4
	v_mul_f32_e32 v74, 0xbeb8f4ab, v4
	v_mul_f32_e32 v75, 0xbf7ee86f, v4
	v_mul_f32_e32 v4, 0xbf06c442, v4
	v_fmamk_f32 v76, v2, 0xbf7ba420, v5
	v_fma_f32 v77, v2, s25, -v5
	v_fmamk_f32 v84, v2, 0xbf59a7d5, v4
	v_fma_f32 v85, v2, s7, -v4
	v_pk_fma_f32 v[4:5], v[2:3], s[18:19], v[8:9] op_sel_hi:[0,1,1] neg_lo:[0,0,1] neg_hi:[0,0,1]
	v_pk_add_f32 v[0:1], v[4:5], v[0:1]
	s_mov_b32 s30, s10
	s_mov_b32 s31, s24
	v_sub_f32_e32 v4, v55, v25
	v_fmamk_f32 v78, v2, 0xbe8c1d8e, v12
	v_fma_f32 v79, v2, s13, -v12
	v_fmamk_f32 v80, v2, 0x3f3d2fb0, v13
	v_fma_f32 v81, v2, s23, -v13
	v_fmamk_f32 v82, v2, 0x3f6eb680, v74
	v_fma_f32 v74, v2, s3, -v74
	v_fmamk_f32 v83, v2, 0x3dbcf732, v75
	v_fma_f32 v75, v2, s11, -v75
	s_mov_b32 s18, s11
	s_mov_b32 s19, s25
	v_add_f32_e32 v2, v54, v42
	v_pk_mul_f32 v[8:9], v[4:5], s[30:31] op_sel_hi:[0,1]
	v_pk_fma_f32 v[12:13], v[2:3], s[18:19], v[8:9] op_sel_hi:[0,1,1]
	v_add_f32_e32 v41, v12, v41
	v_add_f32_e32 v31, v13, v31
	v_mul_f32_e32 v5, 0x3f763a35, v4
	v_mul_f32_e32 v12, 0x3eb8f4ab, v4
	v_mul_f32_e32 v13, 0xbf65296c, v4
	v_mul_f32_e32 v86, 0xbf06c442, v4
	v_mul_f32_e32 v87, 0x3f4c4adb, v4
	v_mul_f32_e32 v4, 0x3f2c7751, v4
	v_fmamk_f32 v88, v2, 0xbe8c1d8e, v5
	v_fma_f32 v89, v2, s13, -v5
	v_fmamk_f32 v105, v2, 0x3f3d2fb0, v4
	v_fma_f32 v106, v2, s23, -v4
	v_pk_fma_f32 v[4:5], v[2:3], s[18:19], v[8:9] op_sel_hi:[0,1,1] neg_lo:[0,0,1] neg_hi:[0,0,1]
	;; [unrolled: 30-line block ×3, first 2 shown]
	v_pk_add_f32 v[0:1], v[4:5], v[0:1]
	v_sub_f32_e32 v4, v47, v49
	v_fmamk_f32 v111, v2, 0x3ee437d1, v12
	v_fma_f32 v112, v2, s1, -v12
	v_fmamk_f32 v113, v2, 0xbf7ba420, v13
	v_fma_f32 v114, v2, s25, -v13
	;; [unrolled: 2-line block ×4, first 2 shown]
	s_mov_b32 s12, s15
	v_add_f32_e32 v2, v46, v48
	v_pk_mul_f32 v[8:9], v[4:5], s[20:21] op_sel_hi:[0,1]
	v_pk_fma_f32 v[12:13], v[2:3], s[12:13], v[8:9] op_sel_hi:[0,1,1]
	v_add_f32_e32 v41, v12, v41
	v_add_f32_e32 v31, v13, v31
	v_mul_f32_e32 v5, 0xbeb8f4ab, v4
	v_mul_f32_e32 v12, 0xbf06c442, v4
	;; [unrolled: 1-line block ×6, first 2 shown]
	v_fmamk_f32 v121, v2, 0x3f6eb680, v5
	v_fma_f32 v122, v2, s3, -v5
	v_fmamk_f32 v129, v2, 0x3ee437d1, v4
	v_fma_f32 v130, v2, s1, -v4
	v_pk_fma_f32 v[4:5], v[2:3], s[12:13], v[8:9] op_sel_hi:[0,1,1] neg_lo:[0,0,1] neg_hi:[0,0,1]
	v_pk_add_f32 v[0:1], v[4:5], v[0:1]
	s_mov_b32 s18, s6
	s_mov_b32 s19, s16
	v_sub_f32_e32 v4, v37, v23
	v_fmamk_f32 v123, v2, 0xbf59a7d5, v12
	v_fma_f32 v124, v2, s7, -v12
	v_fmamk_f32 v125, v2, 0x3dbcf732, v13
	v_fma_f32 v126, v2, s11, -v13
	;; [unrolled: 2-line block ×4, first 2 shown]
	s_mov_b32 s0, s7
	v_add_f32_e32 v2, v36, v45
	v_pk_mul_f32 v[8:9], v[4:5], s[18:19] op_sel_hi:[0,1]
	v_pk_fma_f32 v[12:13], v[2:3], s[0:1], v[8:9] op_sel_hi:[0,1,1]
	v_add_f32_e32 v41, v12, v41
	v_add_f32_e32 v31, v13, v31
	v_mul_f32_e32 v5, 0xbf7ee86f, v4
	v_mul_f32_e32 v12, 0x3f4c4adb, v4
	v_mul_f32_e32 v13, 0xbeb8f4ab, v4
	v_mul_f32_e32 v131, 0xbe3c28d5, v4
	v_mul_f32_e32 v132, 0x3f2c7751, v4
	v_mul_f32_e32 v4, 0xbf763a35, v4
	v_fmamk_f32 v133, v2, 0x3dbcf732, v5
	v_fma_f32 v134, v2, s11, -v5
	v_fmamk_f32 v141, v2, 0xbe8c1d8e, v4
	v_fma_f32 v142, v2, s13, -v4
	v_pk_fma_f32 v[4:5], v[2:3], s[0:1], v[8:9] op_sel_hi:[0,1,1] neg_lo:[0,0,1] neg_hi:[0,0,1]
	v_fmamk_f32 v139, v2, 0xbf7ba420, v131
	v_fma_f32 v131, v2, s25, -v131
	v_pk_add_f32 v[0:1], v[4:5], v[0:1]
	s_mov_b32 s25, s26
	v_sub_f32_e32 v4, v3, v15
	v_fmamk_f32 v135, v2, 0xbf1a4643, v12
	v_fma_f32 v136, v2, s15, -v12
	v_fmamk_f32 v137, v2, 0x3f6eb680, v13
	v_fma_f32 v138, v2, s3, -v13
	;; [unrolled: 2-line block ×3, first 2 shown]
	v_add_f32_e32 v2, v7, v11
	v_pk_mul_f32 v[8:9], v[4:5], s[24:25] op_sel_hi:[0,1]
	v_pk_fma_f32 v[12:13], v[2:3], s[2:3], v[8:9] op_sel_hi:[0,1,1]
	v_pk_fma_f32 v[8:9], v[2:3], s[2:3], v[8:9] op_sel_hi:[0,1,1] neg_lo:[0,0,1] neg_hi:[0,0,1]
	v_add_f32_e32 v5, v12, v41
	v_add_f32_e32 v12, v13, v31
	v_pk_add_f32 v[0:1], v[8:9], v[0:1]
	v_mul_f32_e32 v8, 0xbf06c442, v4
	v_mul_f32_e32 v9, 0x3f2c7751, v4
	;; [unrolled: 1-line block ×6, first 2 shown]
	v_fmamk_f32 v143, v2, 0xbf59a7d5, v8
	v_fma_f32 v8, v2, s7, -v8
	v_fmamk_f32 v144, v2, 0x3f3d2fb0, v9
	v_fma_f32 v9, v2, s23, -v9
	v_fmamk_f32 v145, v2, 0xbf1a4643, v13
	v_fma_f32 v13, v2, s15, -v13
	v_fmamk_f32 v146, v2, 0x3ee437d1, v31
	v_fma_f32 v31, v2, s1, -v31
	v_fmamk_f32 v147, v2, 0xbe8c1d8e, v41
	v_fma_f32 v41, v2, s13, -v41
	v_fmamk_f32 v148, v2, 0x3dbcf732, v4
	v_fma_f32 v2, v2, s11, -v4
	v_add_f32_e32 v4, v38, v6
	v_add_f32_e32 v6, v38, v10
	;; [unrolled: 1-line block ×10, first 2 shown]
	v_mov_b32_e32 v27, 2
	v_add_f32_e32 v29, v38, v29
	v_add_f32_e32 v30, v38, v30
	;; [unrolled: 1-line block ×3, first 2 shown]
	v_lshlrev_b32_sdwa v27, v27, v44 dst_sel:DWORD dst_unused:UNUSED_PAD src0_sel:DWORD src1_sel:BYTE_0
	v_add3_u32 v27, 0, v35, v27
	v_add_f32_e32 v35, v38, v58
	v_add_f32_e32 v35, v35, v56
	v_add_f32_e32 v35, v35, v54
	v_add_f32_e32 v35, v35, v51
	v_add_f32_e32 v35, v35, v46
	v_add_f32_e32 v35, v35, v36
	v_add_f32_e32 v35, v35, v7
	v_add_f32_e32 v35, v35, v11
	v_add_f32_e32 v35, v35, v45
	v_add_f32_e32 v35, v35, v48
	v_add_f32_e32 v35, v35, v53
	v_add_f32_e32 v35, v35, v42
	v_add_f32_e32 v35, v35, v43
	v_add_f32_e32 v35, v35, v60
	v_add_f32_e32 v35, v35, v24
	s_waitcnt lgkmcnt(0)
	; wave barrier
	ds_write2_b32 v27, v35, v5 offset1:17
	v_add_f32_e32 v4, v64, v4
	v_add_f32_e32 v5, v65, v6
	;; [unrolled: 1-line block ×84, first 2 shown]
	ds_write2_b32 v27, v12, v4 offset0:34 offset1:51
	ds_write2_b32 v27, v6, v9 offset0:68 offset1:85
	;; [unrolled: 1-line block ×7, first 2 shown]
	ds_write_b32 v27, v0 offset:1088
	s_waitcnt lgkmcnt(0)
	; wave barrier
	s_waitcnt lgkmcnt(0)
	ds_read2_b32 v[20:21], v100 offset0:33 offset1:84
	ds_read2_b32 v[4:5], v102 offset0:109 offset1:194
	;; [unrolled: 1-line block ×4, first 2 shown]
	ds_read_b32 v18, v96
	ds_read_b32 v14, v97
	;; [unrolled: 1-line block ×3, first 2 shown]
	v_add_u32_e32 v2, 0xa00, v99
	ds_read2_b32 v[8:9], v2 offset0:91 offset1:142
	ds_read_b32 v22, v99
	ds_read_b32 v6, v94
	v_sub_u32_e32 v2, 0, v98
	v_cmp_gt_u32_e64 s[0:1], 34, v162
	v_cmp_lt_u32_e64 s[2:3], 33, v162
	s_and_saveexec_b64 s[6:7], s[2:3]
	s_xor_b64 s[6:7], exec, s[6:7]
	s_or_saveexec_b64 s[6:7], s[6:7]
	v_add_u32_e32 v35, v169, v2
                                        ; implicit-def: $vgpr2
	s_xor_b64 exec, exec, s[6:7]
	s_cbranch_execz .LBB0_15
; %bb.14:
	ds_read_b32 v1, v39
	ds_read_b32 v0, v35 offset:2176
	ds_read_b32 v2, v35 offset:3332
.LBB0_15:
	s_or_b64 exec, exec, s[6:7]
	v_add_f32_e32 v29, v34, v63
	v_add_f32_e32 v29, v29, v59
	;; [unrolled: 1-line block ×17, first 2 shown]
	v_sub_f32_e32 v24, v62, v24
	v_mul_f32_e32 v29, 0x3ee437d1, v26
	v_fmamk_f32 v30, v24, 0x3f65296c, v29
	v_add_f32_e32 v31, v34, v30
	v_mul_f32_e32 v30, 0x3dbcf732, v26
	v_fmamk_f32 v38, v24, 0x3f7ee86f, v30
	v_fmac_f32_e32 v30, 0xbf7ee86f, v24
	v_add_f32_e32 v44, v34, v30
	v_mul_f32_e32 v30, 0xbe8c1d8e, v26
	v_fmamk_f32 v50, v24, 0x3f763a35, v30
	v_fmac_f32_e32 v30, 0xbf763a35, v24
	;; [unrolled: 4-line block ×5, first 2 shown]
	v_add_f32_e32 v67, v34, v30
	v_add_f32_e32 v30, v59, v28
	v_fmac_f32_e32 v29, 0xbf65296c, v24
	v_sub_f32_e32 v28, v58, v60
	v_mul_f32_e32 v58, 0xbf1a4643, v30
	v_add_f32_e32 v29, v34, v29
	v_fmamk_f32 v59, v28, 0x3f4c4adb, v58
	v_fmac_f32_e32 v58, 0xbf4c4adb, v28
	v_add_f32_e32 v29, v58, v29
	v_mul_f32_e32 v58, 0xbf7ba420, v30
	v_add_f32_e32 v38, v34, v38
	v_add_f32_e32 v31, v59, v31
	v_fmamk_f32 v59, v28, 0x3e3c28d5, v58
	v_add_f32_e32 v59, v59, v38
	v_fmac_f32_e32 v58, 0xbe3c28d5, v28
	v_mul_f32_e32 v38, 0xbf59a7d5, v30
	v_add_f32_e32 v50, v34, v50
	v_add_f32_e32 v44, v58, v44
	v_fmamk_f32 v58, v28, 0xbf06c442, v38
	v_fmac_f32_e32 v38, 0x3f06c442, v28
	v_add_f32_e32 v50, v58, v50
	v_add_f32_e32 v58, v38, v61
	v_mul_f32_e32 v38, 0xbe8c1d8e, v30
	v_fmamk_f32 v60, v28, 0xbf763a35, v38
	v_fmac_f32_e32 v38, 0x3f763a35, v28
	v_add_f32_e32 v62, v34, v62
	v_add_f32_e32 v61, v38, v63
	v_mul_f32_e32 v38, 0x3ee437d1, v30
	v_add_f32_e32 v60, v60, v62
	v_fmamk_f32 v62, v28, 0xbf65296c, v38
	v_fmac_f32_e32 v38, 0x3f65296c, v28
	v_add_f32_e32 v64, v34, v64
	v_add_f32_e32 v63, v38, v65
	v_mul_f32_e32 v38, 0x3f6eb680, v30
	v_add_f32_e32 v62, v62, v64
	v_fmamk_f32 v64, v28, 0xbeb8f4ab, v38
	v_fmac_f32_e32 v38, 0x3eb8f4ab, v28
	v_add_f32_e32 v65, v38, v67
	v_add_f32_e32 v38, v57, v40
	v_sub_f32_e32 v40, v56, v43
	v_mul_f32_e32 v43, 0xbf7ba420, v38
	v_fmamk_f32 v56, v40, 0xbe3c28d5, v43
	v_fmac_f32_e32 v43, 0x3e3c28d5, v40
	v_add_f32_e32 v29, v43, v29
	v_mul_f32_e32 v43, 0xbe8c1d8e, v38
	v_add_f32_e32 v31, v56, v31
	v_fmamk_f32 v56, v40, 0xbf763a35, v43
	v_fmac_f32_e32 v43, 0x3f763a35, v40
	v_add_f32_e32 v43, v43, v44
	v_mul_f32_e32 v44, 0x3f3d2fb0, v38
	v_fmamk_f32 v57, v40, 0xbf2c7751, v44
	v_fmac_f32_e32 v44, 0x3f2c7751, v40
	v_add_f32_e32 v50, v57, v50
	v_add_f32_e32 v57, v44, v58
	v_mul_f32_e32 v44, 0x3f6eb680, v38
	v_fmamk_f32 v58, v40, 0x3eb8f4ab, v44
	v_fmac_f32_e32 v44, 0xbeb8f4ab, v40
	v_add_f32_e32 v56, v56, v59
	v_add_f32_e32 v59, v44, v61
	v_mul_f32_e32 v44, 0x3dbcf732, v38
	v_add_f32_e32 v58, v58, v60
	v_fmamk_f32 v60, v40, 0x3f7ee86f, v44
	v_fmac_f32_e32 v44, 0xbf7ee86f, v40
	v_add_f32_e32 v61, v44, v63
	v_mul_f32_e32 v44, 0xbf59a7d5, v38
	v_add_f32_e32 v60, v60, v62
	v_fmamk_f32 v62, v40, 0x3f06c442, v44
	v_fmac_f32_e32 v44, 0xbf06c442, v40
	v_add_f32_e32 v63, v44, v65
	v_add_f32_e32 v44, v55, v25
	v_sub_f32_e32 v42, v54, v42
	v_mul_f32_e32 v25, 0xbe8c1d8e, v44
	v_fmamk_f32 v54, v42, 0xbf763a35, v25
	v_fmac_f32_e32 v25, 0x3f763a35, v42
	v_add_f32_e32 v25, v25, v29
	v_mul_f32_e32 v29, 0x3f6eb680, v44
	v_add_f32_e32 v31, v54, v31
	v_fmamk_f32 v54, v42, 0xbeb8f4ab, v29
	v_fmac_f32_e32 v29, 0x3eb8f4ab, v42
	v_add_f32_e32 v29, v29, v43
	v_mul_f32_e32 v43, 0x3ee437d1, v44
	v_fmamk_f32 v55, v42, 0x3f65296c, v43
	v_add_f32_e32 v55, v55, v50
	v_mul_f32_e32 v50, 0xbf59a7d5, v44
	v_add_f32_e32 v54, v54, v56
	v_fmac_f32_e32 v43, 0xbf65296c, v42
	v_fmamk_f32 v56, v42, 0x3f06c442, v50
	v_fmac_f32_e32 v50, 0xbf06c442, v42
	v_add_f32_e32 v43, v43, v57
	v_add_f32_e32 v57, v50, v59
	v_mul_f32_e32 v50, 0xbf1a4643, v44
	v_add_f32_e32 v56, v56, v58
	v_fmamk_f32 v58, v42, 0xbf4c4adb, v50
	v_fmac_f32_e32 v50, 0x3f4c4adb, v42
	v_add_f32_e32 v59, v50, v61
	v_mul_f32_e32 v50, 0x3f3d2fb0, v44
	v_add_f32_e32 v58, v58, v60
	v_fmamk_f32 v60, v42, 0xbf2c7751, v50
	v_fmac_f32_e32 v50, 0x3f2c7751, v42
	v_add_f32_e32 v61, v50, v63
	v_add_f32_e32 v50, v52, v19
	v_sub_f32_e32 v52, v51, v53
	v_mul_f32_e32 v19, 0x3f3d2fb0, v50
	v_fmamk_f32 v51, v52, 0xbf2c7751, v19
	v_fmac_f32_e32 v19, 0x3f2c7751, v52
	v_add_f32_e32 v19, v19, v25
	v_mul_f32_e32 v25, 0x3ee437d1, v50
	v_add_f32_e32 v31, v51, v31
	v_fmamk_f32 v51, v52, 0x3f65296c, v25
	v_fmac_f32_e32 v25, 0xbf65296c, v52
	v_add_f32_e32 v25, v25, v29
	v_mul_f32_e32 v29, 0xbf7ba420, v50
	v_fmamk_f32 v53, v52, 0x3e3c28d5, v29
	v_fmac_f32_e32 v29, 0xbe3c28d5, v52
	v_add_f32_e32 v29, v29, v43
	v_mul_f32_e32 v43, 0x3dbcf732, v50
	v_add_f32_e32 v51, v51, v54
	v_fmamk_f32 v54, v52, 0xbf7ee86f, v43
	v_add_f32_e32 v53, v53, v55
	v_add_f32_e32 v55, v54, v56
	v_mul_f32_e32 v54, 0x3f6eb680, v50
	v_fmac_f32_e32 v43, 0x3f7ee86f, v52
	v_fmamk_f32 v56, v52, 0x3eb8f4ab, v54
	v_fmac_f32_e32 v54, 0xbeb8f4ab, v52
	v_add_f32_e32 v43, v43, v57
	v_add_f32_e32 v57, v54, v59
	v_mul_f32_e32 v54, 0xbf1a4643, v50
	v_add_f32_e32 v56, v56, v58
	v_fmamk_f32 v58, v52, 0x3f4c4adb, v54
	v_fmac_f32_e32 v54, 0xbf4c4adb, v52
	v_add_f32_e32 v59, v54, v61
	v_add_f32_e32 v54, v47, v49
	v_sub_f32_e32 v46, v46, v48
	v_mul_f32_e32 v47, 0x3f6eb680, v54
	v_fmamk_f32 v48, v46, 0x3eb8f4ab, v47
	v_fmac_f32_e32 v47, 0xbeb8f4ab, v46
	v_add_f32_e32 v19, v47, v19
	v_mul_f32_e32 v47, 0xbf59a7d5, v54
	v_add_f32_e32 v31, v48, v31
	v_fmamk_f32 v48, v46, 0x3f06c442, v47
	v_fmac_f32_e32 v47, 0xbf06c442, v46
	v_add_f32_e32 v25, v47, v25
	v_mul_f32_e32 v47, 0x3dbcf732, v54
	v_add_f32_e32 v49, v48, v51
	;; [unrolled: 5-line block ×4, first 2 shown]
	v_fmamk_f32 v48, v46, 0x3e3c28d5, v47
	v_add_f32_e32 v55, v48, v56
	v_mul_f32_e32 v48, 0x3ee437d1, v54
	v_fmac_f32_e32 v47, 0xbe3c28d5, v46
	v_fmamk_f32 v56, v46, 0xbf65296c, v48
	v_fmac_f32_e32 v48, 0x3f65296c, v46
	v_add_f32_e32 v47, v47, v57
	v_add_f32_e32 v57, v48, v59
	;; [unrolled: 1-line block ×3, first 2 shown]
	v_sub_f32_e32 v36, v36, v45
	v_mul_f32_e32 v23, 0x3dbcf732, v48
	v_fmamk_f32 v37, v36, 0x3f7ee86f, v23
	v_fmac_f32_e32 v23, 0xbf7ee86f, v36
	v_add_f32_e32 v19, v23, v19
	v_mul_f32_e32 v23, 0xbf1a4643, v48
	v_add_f32_e32 v37, v37, v31
	v_fmamk_f32 v31, v36, 0xbf4c4adb, v23
	v_fmac_f32_e32 v23, 0x3f4c4adb, v36
	v_add_f32_e32 v23, v23, v25
	v_mul_f32_e32 v25, 0x3f6eb680, v48
	v_add_f32_e32 v45, v31, v49
	v_fmamk_f32 v31, v36, 0x3eb8f4ab, v25
	v_fmac_f32_e32 v25, 0xbeb8f4ab, v36
	v_add_f32_e32 v49, v31, v51
	v_add_f32_e32 v51, v25, v29
	v_mul_f32_e32 v25, 0xbf7ba420, v48
	v_add_f32_e32 v66, v34, v66
	v_fmamk_f32 v29, v36, 0x3e3c28d5, v25
	v_fmac_f32_e32 v25, 0xbe3c28d5, v36
	v_add_f32_e32 v64, v64, v66
	v_add_f32_e32 v43, v25, v43
	v_mul_f32_e32 v25, 0x3f3d2fb0, v48
	s_mov_b32 s28, 0x3f6eb680
	v_add_f32_e32 v62, v62, v64
	v_add_f32_e32 v53, v29, v53
	v_fmamk_f32 v29, v36, 0xbf2c7751, v25
	v_fmac_f32_e32 v25, 0x3f2c7751, v36
	s_mov_b32 s29, 0x3f3d2fb0
	s_mov_b32 s34, 0xbeb8f4ab
	v_add_f32_e32 v60, v60, v62
	v_add_f32_e32 v47, v25, v47
	v_mul_f32_e32 v25, 0xbe8c1d8e, v48
	s_mov_b32 s25, 0x3dbcf732
	s_mov_b32 s35, 0xbf2c7751
	v_add_f32_e32 v58, v58, v60
	v_add_f32_e32 v55, v29, v55
	v_fmamk_f32 v29, v36, 0x3f763a35, v25
	v_fmac_f32_e32 v25, 0xbf763a35, v36
	v_pk_mul_f32 v[60:61], v[26:27], s[28:29] op_sel_hi:[0,1]
	s_mov_b32 s24, s29
	s_mov_b32 s10, 0x3ee437d1
	;; [unrolled: 1-line block ×3, first 2 shown]
	v_add_f32_e32 v56, v56, v58
	v_add_f32_e32 v57, v25, v57
	v_pk_fma_f32 v[62:63], v[24:25], s[34:35], v[60:61] op_sel_hi:[0,1,1] neg_lo:[1,0,0] neg_hi:[1,0,0]
	v_pk_fma_f32 v[24:25], v[24:25], s[34:35], v[60:61] op_sel_hi:[0,1,1]
	v_pk_mul_f32 v[30:31], v[30:31], s[24:25] op_sel_hi:[0,1]
	s_mov_b32 s26, s35
	s_mov_b32 s11, 0xbf1a4643
	;; [unrolled: 1-line block ×3, first 2 shown]
	v_add_f32_e32 v59, v29, v56
	v_pk_add_f32 v[24:25], v[34:35], v[24:25] op_sel_hi:[0,1]
	v_pk_fma_f32 v[60:61], v[28:29], s[26:27], v[30:31] op_sel_hi:[0,1,1] neg_lo:[1,0,0] neg_hi:[1,0,0]
	v_pk_fma_f32 v[28:29], v[28:29], s[26:27], v[30:31] op_sel_hi:[0,1,1]
	s_mov_b32 s13, 0xbf4c4adb
	v_pk_add_f32 v[24:25], v[28:29], v[24:25]
	v_pk_mul_f32 v[28:29], v[38:39], s[10:11] op_sel_hi:[0,1]
	s_mov_b32 s19, 0xbf7ba420
	v_add_f32_e32 v56, v3, v15
	v_sub_f32_e32 v58, v7, v11
	v_add_f32_e32 v3, v34, v62
	v_add_f32_e32 v7, v34, v63
	v_pk_fma_f32 v[30:31], v[40:41], s[12:13], v[28:29] op_sel_hi:[0,1,1] neg_lo:[1,0,0] neg_hi:[1,0,0]
	v_pk_fma_f32 v[28:29], v[40:41], s[12:13], v[28:29] op_sel_hi:[0,1,1]
	s_mov_b32 s18, s25
	s_mov_b32 s14, 0xbe8c1d8e
	;; [unrolled: 1-line block ×3, first 2 shown]
	v_add_f32_e32 v3, v60, v3
	v_add_f32_e32 v7, v61, v7
	v_pk_add_f32 v[24:25], v[28:29], v[24:25]
	v_pk_mul_f32 v[28:29], v[44:45], s[18:19] op_sel_hi:[0,1]
	s_mov_b32 s20, s27
	s_mov_b32 s15, 0xbf59a7d5
	;; [unrolled: 1-line block ×3, first 2 shown]
	v_add_f32_e32 v3, v30, v3
	v_add_f32_e32 v7, v31, v7
	v_pk_fma_f32 v[30:31], v[42:43], s[20:21], v[28:29] op_sel_hi:[0,1,1] neg_lo:[1,0,0] neg_hi:[1,0,0]
	v_pk_fma_f32 v[28:29], v[42:43], s[20:21], v[28:29] op_sel_hi:[0,1,1]
	s_mov_b32 s23, 0x3f06c442
	v_pk_add_f32 v[24:25], v[28:29], v[24:25]
	v_pk_mul_f32 v[28:29], v[50:51], s[14:15] op_sel_hi:[0,1]
	v_add_f32_e32 v3, v30, v3
	v_add_f32_e32 v7, v31, v7
	v_pk_fma_f32 v[30:31], v[52:53], s[22:23], v[28:29] op_sel_hi:[0,1,1] neg_lo:[1,0,0] neg_hi:[1,0,0]
	v_pk_fma_f32 v[28:29], v[52:53], s[22:23], v[28:29] op_sel_hi:[0,1,1]
	s_mov_b32 s22, s11
	s_mov_b32 s23, s14
	s_mov_b32 s17, 0x3f763a35
	v_pk_add_f32 v[24:25], v[28:29], v[24:25]
	v_pk_mul_f32 v[28:29], v[54:55], s[22:23] op_sel_hi:[0,1]
	s_mov_b32 s16, s13
	s_mov_b32 s6, 0xbf06c442
	v_add_f32_e32 v3, v30, v3
	v_add_f32_e32 v7, v31, v7
	v_pk_fma_f32 v[30:31], v[46:47], s[16:17], v[28:29] op_sel_hi:[0,1,1] neg_lo:[1,0,0] neg_hi:[1,0,0]
	v_pk_fma_f32 v[28:29], v[46:47], s[16:17], v[28:29] op_sel_hi:[0,1,1]
	s_mov_b32 s12, s15
	s_mov_b32 s13, s10
	;; [unrolled: 1-line block ×3, first 2 shown]
	v_pk_add_f32 v[24:25], v[28:29], v[24:25]
	v_pk_mul_f32 v[28:29], v[48:49], s[12:13] op_sel_hi:[0,1]
	v_mul_f32_e32 v11, 0xbf59a7d5, v56
	v_add_f32_e32 v3, v30, v3
	v_add_f32_e32 v7, v31, v7
	v_pk_fma_f32 v[30:31], v[36:37], s[6:7], v[28:29] op_sel_hi:[0,1,1] neg_lo:[1,0,0] neg_hi:[1,0,0]
	v_pk_fma_f32 v[28:29], v[36:37], s[6:7], v[28:29] op_sel_hi:[0,1,1]
	s_mov_b32 s6, s19
	s_mov_b32 s7, s28
	v_fmamk_f32 v15, v58, 0x3f06c442, v11
	v_fmac_f32_e32 v11, 0xbf06c442, v58
	s_mov_b32 s31, 0x3eb8f4ab
	v_pk_add_f32 v[24:25], v[28:29], v[24:25]
	v_pk_mul_f32 v[28:29], v[56:57], s[6:7] op_sel_hi:[0,1]
	s_mov_b32 s30, s21
	v_add_f32_e32 v11, v11, v19
	v_mul_f32_e32 v19, 0x3f3d2fb0, v56
	v_add_f32_e32 v3, v30, v3
	v_add_f32_e32 v7, v31, v7
	v_pk_fma_f32 v[30:31], v[58:59], s[30:31], v[28:29] op_sel_hi:[0,1,1] neg_lo:[1,0,0] neg_hi:[1,0,0]
	v_pk_fma_f32 v[28:29], v[58:59], s[30:31], v[28:29] op_sel_hi:[0,1,1]
	v_fmamk_f32 v26, v58, 0xbf2c7751, v19
	v_fmac_f32_e32 v19, 0x3f2c7751, v58
	v_add_f32_e32 v7, v31, v7
	v_pk_add_f32 v[24:25], v[28:29], v[24:25]
	v_add_f32_e32 v19, v19, v23
	v_mul_f32_e32 v23, 0xbf1a4643, v56
	v_mul_f32_e32 v29, 0x3ee437d1, v56
	;; [unrolled: 1-line block ×4, first 2 shown]
	v_add_f32_e32 v3, v30, v3
	v_add_f32_e32 v15, v15, v37
	v_fmamk_f32 v28, v58, 0x3f4c4adb, v23
	v_fmac_f32_e32 v23, 0xbf4c4adb, v58
	v_fmamk_f32 v30, v58, 0xbf65296c, v29
	v_fmac_f32_e32 v29, 0x3f65296c, v58
	;; [unrolled: 2-line block ×4, first 2 shown]
	v_add_f32_e32 v26, v26, v45
	v_add_f32_e32 v28, v28, v49
	;; [unrolled: 1-line block ×9, first 2 shown]
	s_waitcnt lgkmcnt(0)
	; wave barrier
	s_waitcnt lgkmcnt(0)
	ds_write2_b32 v27, v41, v3 offset1:17
	ds_write2_b32 v27, v7, v15 offset0:34 offset1:51
	ds_write2_b32 v27, v26, v28 offset0:68 offset1:85
	;; [unrolled: 1-line block ×7, first 2 shown]
	ds_write_b32 v27, v24 offset:1088
	v_add_u32_e32 v7, 0x600, v35
	s_waitcnt lgkmcnt(0)
	; wave barrier
	s_waitcnt lgkmcnt(0)
	v_add_u32_e32 v3, 0x400, v35
	ds_read2_b32 v[28:29], v7 offset0:109 offset1:194
	v_add_u32_e32 v7, 0x800, v35
	ds_read2_b32 v[44:45], v3 offset0:33 offset1:84
	ds_read2_b32 v[40:41], v7 offset0:117 offset1:168
	;; [unrolled: 1-line block ×3, first 2 shown]
	ds_read_b32 v19, v96
	ds_read_b32 v15, v97
	;; [unrolled: 1-line block ×3, first 2 shown]
	v_add_u32_e32 v3, 0xa00, v35
	ds_read2_b32 v[30:31], v3 offset0:91 offset1:142
	ds_read_b32 v23, v35
	ds_read_b32 v7, v94
	s_and_saveexec_b64 s[6:7], s[2:3]
	s_xor_b64 s[2:3], exec, s[6:7]
	s_cbranch_execnz .LBB0_19
; %bb.16:
	s_or_saveexec_b64 s[2:3], s[2:3]
                                        ; implicit-def: $vgpr26
	s_xor_b64 exec, exec, s[2:3]
	s_cbranch_execnz .LBB0_20
.LBB0_17:
	s_or_b64 exec, exec, s[2:3]
	s_and_saveexec_b64 s[2:3], vcc
	s_cbranch_execnz .LBB0_21
.LBB0_18:
	s_endpgm
.LBB0_19:
                                        ; implicit-def: $vgpr39
                                        ; implicit-def: $vgpr35
	s_or_saveexec_b64 s[2:3], s[2:3]
                                        ; implicit-def: $vgpr26
	s_xor_b64 exec, exec, s[2:3]
	s_cbranch_execz .LBB0_17
.LBB0_20:
	ds_read_b32 v25, v39
	ds_read_b32 v24, v35 offset:2176
	ds_read_b32 v26, v35 offset:3332
	s_or_b64 exec, exec, s[2:3]
	s_and_saveexec_b64 s[2:3], vcc
	s_cbranch_execz .LBB0_18
.LBB0_21:
	v_lshlrev_b32_e32 v34, 1, v167
	v_mov_b32_e32 v35, 0
	v_lshl_add_u64 v[38:39], v[34:35], 3, s[4:5]
	v_lshlrev_b32_e32 v34, 1, v166
	v_lshl_add_u64 v[42:43], v[34:35], 3, s[4:5]
	v_lshlrev_b32_e32 v34, 1, v165
	;; [unrolled: 2-line block ×4, first 2 shown]
	v_lshl_add_u64 v[58:59], v[34:35], 3, s[4:5]
	global_load_dwordx4 v[46:49], v[56:57], off offset:2176
	global_load_dwordx4 v[50:53], v[58:59], off offset:2176
	v_mad_u64_u32 v[58:59], s[2:3], s8, v162, 0
	v_mov_b32_e32 v56, v59
	v_mad_u64_u32 v[56:57], s[6:7], s9, v162, v[56:57]
	v_mov_b32_e32 v59, v56
	global_load_dwordx4 v[54:57], v[54:55], off offset:2176
	s_waitcnt lgkmcnt(9)
	v_mov_b32_e32 v34, v29
	v_mov_b32_e32 v60, v5
	;; [unrolled: 1-line block ×3, first 2 shown]
	v_mad_u64_u32 v[64:65], s[6:7], s8, v164, 0
	v_add_u32_e32 v5, 0x154, v162
	v_add_u32_e32 v29, 0x275, v162
	v_mov_b32_e32 v76, v65
	v_mad_u64_u32 v[78:79], s[6:7], s8, v5, 0
	v_mad_u64_u32 v[80:81], s[6:7], s8, v29, 0
	v_mad_u64_u32 v[76:77], s[6:7], s9, v164, v[76:77]
	v_mov_b32_e32 v86, v79
	v_mov_b32_e32 v88, v81
	;; [unrolled: 1-line block ×3, first 2 shown]
	v_mad_u64_u32 v[76:77], s[6:7], s9, v5, v[86:87]
	v_mad_u64_u32 v[86:87], s[6:7], s9, v29, v[88:89]
	s_waitcnt lgkmcnt(8)
	v_mov_b32_e32 v66, v45
	v_mov_b32_e32 v79, v76
	;; [unrolled: 1-line block ×5, first 2 shown]
	v_lshl_add_u64 v[76:77], v[78:79], 3, v[32:33]
	v_lshl_add_u64 v[78:79], v[80:81], 3, v[32:33]
	v_add_u32_e32 v3, 0x121, v162
	v_add_u32_e32 v27, 0x242, v162
	v_mad_u64_u32 v[72:73], s[6:7], s8, v3, 0
	s_movk_i32 s3, 0x242
	s_mov_b32 s2, 0x3f5db3d7
	v_mad_u64_u32 v[74:75], s[6:7], s8, v27, 0
	v_mov_b32_e32 v82, v73
	v_mov_b32_e32 v84, v75
	v_mad_u64_u32 v[82:83], s[6:7], s9, v3, v[82:83]
	v_mad_u64_u32 v[84:85], s[6:7], s9, v27, v[84:85]
	v_mov_b32_e32 v73, v82
	v_lshl_add_u64 v[58:59], v[58:59], 3, v[32:33]
	v_mov_b32_e32 v75, v84
	v_lshl_add_u64 v[72:73], v[72:73], 3, v[32:33]
	v_lshl_add_u64 v[74:75], v[74:75], 3, v[32:33]
	;; [unrolled: 1-line block ×3, first 2 shown]
	v_add_u32_e32 v3, 0x66, v162
	s_waitcnt vmcnt(2)
	v_pk_mul_f32 v[66:67], v[66:67], v[46:47] op_sel_hi:[0,1]
	s_waitcnt vmcnt(1)
	v_pk_mul_f32 v[44:45], v[44:45], v[50:51] op_sel_hi:[0,1]
	v_pk_mul_f32 v[80:81], v[34:35], v[52:53] op_sel_hi:[0,1]
	v_pk_fma_f32 v[68:69], v[68:69], v[46:47], v[66:67] op_sel:[0,0,1] op_sel_hi:[1,1,0]
	v_pk_fma_f32 v[46:47], v[70:71], v[46:47], v[66:67] op_sel:[0,0,1] op_sel_hi:[0,1,0] neg_lo:[1,0,0] neg_hi:[1,0,0]
	v_pk_fma_f32 v[66:67], v[20:21], v[50:51], v[44:45] op_sel:[0,0,1] op_sel_hi:[1,1,0]
	v_pk_fma_f32 v[20:21], v[20:21], v[50:51], v[44:45] op_sel:[0,0,1] op_sel_hi:[0,1,0] neg_lo:[1,0,0] neg_hi:[1,0,0]
	;; [unrolled: 2-line block ×3, first 2 shown]
	v_mov_b32_e32 v67, v21
	v_mov_b32_e32 v45, v51
	;; [unrolled: 1-line block ×3, first 2 shown]
	v_pk_add_f32 v[20:21], v[66:67], v[44:45]
	v_pk_add_f32 v[46:47], v[66:67], v[44:45] neg_lo:[0,1] neg_hi:[0,1]
	s_waitcnt lgkmcnt(1)
	v_pk_add_f32 v[50:51], v[22:23], v[66:67]
	v_pk_fma_f32 v[20:21], v[20:21], 0.5, v[22:23] op_sel_hi:[1,0,1] neg_lo:[1,0,0] neg_hi:[1,0,0]
	v_pk_mul_f32 v[22:23], v[46:47], s[2:3] op_sel_hi:[1,0]
	v_pk_add_f32 v[44:45], v[50:51], v[44:45]
	v_pk_add_f32 v[46:47], v[20:21], v[22:23] op_sel:[0,1] op_sel_hi:[1,0]
	v_pk_add_f32 v[20:21], v[20:21], v[22:23] op_sel:[0,1] op_sel_hi:[1,0] neg_lo:[0,1] neg_hi:[0,1]
	v_mov_b32_e32 v23, v47
	v_mov_b32_e32 v22, v20
	;; [unrolled: 1-line block ×3, first 2 shown]
	v_pk_mul_f32 v[20:21], v[40:41], v[48:49] op_sel_hi:[0,1]
	global_store_dwordx2 v[58:59], v[44:45], off
	global_store_dwordx2 v[72:73], v[22:23], off
	global_store_dwordx2 v[74:75], v[46:47], off
	v_pk_fma_f32 v[22:23], v[16:17], v[48:49], v[20:21] op_sel:[0,0,1] op_sel_hi:[1,1,0]
	v_pk_fma_f32 v[20:21], v[16:17], v[48:49], v[20:21] op_sel:[0,0,1] op_sel_hi:[0,1,0] neg_lo:[1,0,0] neg_hi:[1,0,0]
	v_mov_b32_e32 v23, v21
	v_pk_add_f32 v[20:21], v[68:69], v[22:23]
	v_pk_add_f32 v[44:45], v[68:69], v[22:23] neg_lo:[0,1] neg_hi:[0,1]
	v_pk_fma_f32 v[20:21], v[20:21], 0.5, v[18:19] op_sel_hi:[1,0,1] neg_lo:[1,0,0] neg_hi:[1,0,0]
	v_pk_mul_f32 v[44:45], v[44:45], s[2:3] op_sel_hi:[1,0]
	v_pk_add_f32 v[18:19], v[18:19], v[68:69]
	v_pk_add_f32 v[46:47], v[20:21], v[44:45] op_sel:[0,1] op_sel_hi:[1,0]
	v_pk_add_f32 v[44:45], v[20:21], v[44:45] op_sel:[0,1] op_sel_hi:[1,0] neg_lo:[0,1] neg_hi:[0,1]
	v_pk_add_f32 v[18:19], v[18:19], v[22:23]
	v_mov_b32_e32 v22, v44
	v_mov_b32_e32 v23, v47
	global_store_dwordx2 v[64:65], v[18:19], off
	global_load_dwordx4 v[18:21], v[42:43], off offset:2176
	v_mov_b32_e32 v47, v45
	global_store_dwordx2 v[76:77], v[22:23], off
	v_mad_u64_u32 v[22:23], s[6:7], s8, v3, 0
	v_mov_b32_e32 v16, v23
	v_mad_u64_u32 v[42:43], s[6:7], s9, v3, v[16:17]
	v_add_u32_e32 v3, 0x187, v162
	v_mov_b32_e32 v23, v42
	v_mad_u64_u32 v[42:43], s[6:7], s8, v3, 0
	v_mov_b32_e32 v16, v43
	v_mad_u64_u32 v[44:45], s[6:7], s9, v3, v[16:17]
	v_add_u32_e32 v3, 0x2a8, v162
	v_mov_b32_e32 v43, v44
	v_mad_u64_u32 v[44:45], s[6:7], s8, v3, 0
	v_mov_b32_e32 v16, v45
	global_store_dwordx2 v[78:79], v[46:47], off
	v_mad_u64_u32 v[46:47], s[6:7], s9, v3, v[16:17]
	v_mov_b32_e32 v45, v46
	s_waitcnt vmcnt(7)
	v_pk_mul_f32 v[46:47], v[36:37], v[54:55] op_sel_hi:[0,1]
	v_pk_fma_f32 v[48:49], v[12:13], v[54:55], v[46:47] op_sel:[0,0,1] op_sel_hi:[1,1,0]
	v_pk_fma_f32 v[46:47], v[12:13], v[54:55], v[46:47] op_sel:[0,0,1] op_sel_hi:[0,1,0] neg_lo:[1,0,0] neg_hi:[1,0,0]
	v_mov_b32_e32 v12, v41
	v_pk_mul_f32 v[40:41], v[12:13], v[56:57] op_sel_hi:[0,1]
	v_mov_b32_e32 v12, v17
	v_mov_b32_e32 v49, v47
	v_pk_fma_f32 v[46:47], v[12:13], v[56:57], v[40:41] op_sel:[0,0,1] op_sel_hi:[1,1,0]
	v_pk_fma_f32 v[16:17], v[12:13], v[56:57], v[40:41] op_sel:[0,0,1] op_sel_hi:[0,1,0] neg_lo:[1,0,0] neg_hi:[1,0,0]
	v_mov_b32_e32 v47, v17
	v_pk_add_f32 v[16:17], v[48:49], v[46:47]
	v_pk_add_f32 v[40:41], v[48:49], v[46:47] neg_lo:[0,1] neg_hi:[0,1]
	v_pk_fma_f32 v[16:17], v[16:17], 0.5, v[14:15] op_sel_hi:[1,0,1] neg_lo:[1,0,0] neg_hi:[1,0,0]
	v_pk_mul_f32 v[40:41], v[40:41], s[2:3] op_sel_hi:[1,0]
	v_pk_add_f32 v[14:15], v[14:15], v[48:49]
	v_lshl_add_u64 v[22:23], v[22:23], 3, v[32:33]
	v_pk_add_f32 v[50:51], v[16:17], v[40:41] op_sel:[0,1] op_sel_hi:[1,0]
	v_pk_add_f32 v[40:41], v[16:17], v[40:41] op_sel:[0,1] op_sel_hi:[1,0] neg_lo:[0,1] neg_hi:[0,1]
	v_pk_add_f32 v[14:15], v[14:15], v[46:47]
	v_lshl_add_u64 v[42:43], v[42:43], 3, v[32:33]
	global_store_dwordx2 v[22:23], v[14:15], off
	v_mov_b32_e32 v14, v40
	v_mov_b32_e32 v15, v51
	global_store_dwordx2 v[42:43], v[14:15], off
	global_load_dwordx4 v[14:17], v[38:39], off offset:2176
	v_add_u32_e32 v3, 0x99, v162
	v_mad_u64_u32 v[22:23], s[6:7], s8, v3, 0
	v_mov_b32_e32 v12, v23
	v_mad_u64_u32 v[38:39], s[6:7], s9, v3, v[12:13]
	v_add_u32_e32 v3, 0x1ba, v162
	v_mov_b32_e32 v23, v38
	v_mad_u64_u32 v[38:39], s[6:7], s8, v3, 0
	v_mov_b32_e32 v12, v39
	v_mov_b32_e32 v51, v41
	v_mad_u64_u32 v[40:41], s[6:7], s9, v3, v[12:13]
	v_add_u32_e32 v3, 0x2db, v162
	v_mov_b32_e32 v39, v40
	v_mad_u64_u32 v[40:41], s[6:7], s8, v3, 0
	v_mov_b32_e32 v12, v41
	v_mad_u64_u32 v[42:43], s[6:7], s9, v3, v[12:13]
	v_mov_b32_e32 v12, v37
	v_mov_b32_e32 v41, v42
	v_add_u32_e32 v3, 0xcc, v162
	s_mov_b32 s6, 0xe2c4a689
	v_mul_hi_u32 v5, v3, s6
	v_lshl_add_u64 v[44:45], v[44:45], 3, v[32:33]
	v_lshl_add_u64 v[22:23], v[22:23], 3, v[32:33]
	v_lshrrev_b32_e32 v5, 8, v5
	global_store_dwordx2 v[44:45], v[50:51], off
	v_lshl_add_u64 v[38:39], v[38:39], 3, v[32:33]
	s_waitcnt vmcnt(6)
	v_pk_mul_f32 v[36:37], v[12:13], v[18:19] op_sel_hi:[0,1]
	v_mov_b32_e32 v12, v13
	v_pk_fma_f32 v[42:43], v[12:13], v[18:19], v[36:37] op_sel:[0,0,1] op_sel_hi:[1,1,0]
	v_pk_fma_f32 v[12:13], v[12:13], v[18:19], v[36:37] op_sel:[0,0,1] op_sel_hi:[0,1,0] neg_lo:[1,0,0] neg_hi:[1,0,0]
	v_mov_b32_e32 v43, v13
	v_pk_mul_f32 v[12:13], v[30:31], v[20:21] op_sel_hi:[0,1]
	v_pk_fma_f32 v[18:19], v[8:9], v[20:21], v[12:13] op_sel:[0,0,1] op_sel_hi:[1,1,0]
	v_pk_fma_f32 v[12:13], v[8:9], v[20:21], v[12:13] op_sel:[0,0,1] op_sel_hi:[0,1,0] neg_lo:[1,0,0] neg_hi:[1,0,0]
	v_mov_b32_e32 v19, v13
	v_pk_add_f32 v[12:13], v[42:43], v[18:19]
	v_pk_add_f32 v[20:21], v[42:43], v[18:19] neg_lo:[0,1] neg_hi:[0,1]
	v_pk_fma_f32 v[12:13], v[12:13], 0.5, v[10:11] op_sel_hi:[1,0,1] neg_lo:[1,0,0] neg_hi:[1,0,0]
	v_pk_mul_f32 v[20:21], v[20:21], s[2:3] op_sel_hi:[1,0]
	v_pk_add_f32 v[10:11], v[10:11], v[42:43]
	v_pk_add_f32 v[36:37], v[12:13], v[20:21] op_sel:[0,1] op_sel_hi:[1,0]
	v_pk_add_f32 v[12:13], v[12:13], v[20:21] op_sel:[0,1] op_sel_hi:[1,0] neg_lo:[0,1] neg_hi:[0,1]
	v_pk_add_f32 v[10:11], v[10:11], v[18:19]
	global_store_dwordx2 v[22:23], v[10:11], off
	v_mov_b32_e32 v10, v12
	v_mov_b32_e32 v11, v37
	v_mad_u32_u24 v3, v5, s3, v3
	global_store_dwordx2 v[38:39], v[10:11], off
	v_mad_u64_u32 v[10:11], s[6:7], s8, v3, 0
	v_mov_b32_e32 v8, v11
	v_mov_b32_e32 v37, v13
	v_mad_u64_u32 v[12:13], s[6:7], s9, v3, v[8:9]
	v_add_u32_e32 v5, 0x121, v3
	v_mov_b32_e32 v11, v12
	v_mad_u64_u32 v[12:13], s[6:7], s8, v5, 0
	v_mov_b32_e32 v8, v13
	v_mad_u64_u32 v[18:19], s[6:7], s9, v5, v[8:9]
	v_add_u32_e32 v3, 0x242, v3
	v_mov_b32_e32 v13, v18
	v_mad_u64_u32 v[18:19], s[6:7], s8, v3, 0
	v_mov_b32_e32 v8, v19
	v_mad_u64_u32 v[20:21], s[6:7], s9, v3, v[8:9]
	v_mov_b32_e32 v19, v20
	v_mov_b32_e32 v8, v9
	v_lshl_add_u64 v[40:41], v[40:41], 3, v[32:33]
	v_lshl_add_u64 v[10:11], v[10:11], 3, v[32:33]
	global_store_dwordx2 v[40:41], v[36:37], off
	v_lshl_add_u64 v[12:13], v[12:13], 3, v[32:33]
	s_waitcnt vmcnt(4)
	v_pk_mul_f32 v[20:21], v[28:29], v[14:15] op_sel_hi:[0,1]
	v_pk_fma_f32 v[22:23], v[4:5], v[14:15], v[20:21] op_sel:[0,0,1] op_sel_hi:[1,1,0]
	v_pk_fma_f32 v[4:5], v[4:5], v[14:15], v[20:21] op_sel:[0,0,1] op_sel_hi:[0,1,0] neg_lo:[1,0,0] neg_hi:[1,0,0]
	v_mov_b32_e32 v4, v31
	v_mov_b32_e32 v23, v5
	v_pk_mul_f32 v[4:5], v[4:5], v[16:17] op_sel_hi:[0,1]
	v_pk_fma_f32 v[14:15], v[8:9], v[16:17], v[4:5] op_sel:[0,0,1] op_sel_hi:[1,1,0]
	v_pk_fma_f32 v[4:5], v[8:9], v[16:17], v[4:5] op_sel:[0,0,1] op_sel_hi:[0,1,0] neg_lo:[1,0,0] neg_hi:[1,0,0]
	v_mov_b32_e32 v15, v5
	v_pk_add_f32 v[4:5], v[22:23], v[14:15]
	v_pk_add_f32 v[8:9], v[22:23], v[14:15] neg_lo:[0,1] neg_hi:[0,1]
	s_waitcnt lgkmcnt(0)
	v_pk_fma_f32 v[4:5], v[4:5], 0.5, v[6:7] op_sel_hi:[1,0,1] neg_lo:[1,0,0] neg_hi:[1,0,0]
	v_pk_mul_f32 v[8:9], v[8:9], s[2:3] op_sel_hi:[1,0]
	v_pk_add_f32 v[6:7], v[6:7], v[22:23]
	v_pk_add_f32 v[16:17], v[4:5], v[8:9] op_sel:[0,1] op_sel_hi:[1,0]
	v_pk_add_f32 v[4:5], v[4:5], v[8:9] op_sel:[0,1] op_sel_hi:[1,0] neg_lo:[0,1] neg_hi:[0,1]
	v_pk_add_f32 v[6:7], v[6:7], v[14:15]
	v_lshl_add_u64 v[18:19], v[18:19], 3, v[32:33]
	global_store_dwordx2 v[10:11], v[6:7], off
	v_mov_b32_e32 v6, v4
	v_mov_b32_e32 v7, v17
	v_mov_b32_e32 v17, v5
	global_store_dwordx2 v[12:13], v[6:7], off
	global_store_dwordx2 v[18:19], v[16:17], off
	s_and_b64 exec, exec, s[0:1]
	s_cbranch_execz .LBB0_18
; %bb.22:
	v_subrev_u32_e32 v3, 34, v162
	v_cndmask_b32_e64 v3, v3, v163, s[0:1]
	v_lshlrev_b32_e32 v34, 1, v3
	v_lshl_add_u64 v[4:5], v[34:35], 3, s[4:5]
	global_load_dwordx4 v[4:7], v[4:5], off offset:2176
	v_add_u32_e32 v3, 0xff, v162
	v_add_u32_e32 v17, 0x220, v162
	;; [unrolled: 1-line block ×3, first 2 shown]
	v_mad_u64_u32 v[8:9], s[0:1], s8, v3, 0
	v_mad_u64_u32 v[10:11], s[0:1], s8, v17, 0
	;; [unrolled: 1-line block ×3, first 2 shown]
	v_mov_b32_e32 v14, v9
	v_mov_b32_e32 v16, v11
	;; [unrolled: 1-line block ×3, first 2 shown]
	v_mad_u64_u32 v[14:15], s[0:1], s9, v3, v[14:15]
	v_mad_u64_u32 v[16:17], s[0:1], s9, v17, v[16:17]
	;; [unrolled: 1-line block ×3, first 2 shown]
	v_mov_b32_e32 v9, v14
	v_mov_b32_e32 v11, v16
	;; [unrolled: 1-line block ×3, first 2 shown]
	v_lshl_add_u64 v[8:9], v[8:9], 3, v[32:33]
	v_lshl_add_u64 v[10:11], v[10:11], 3, v[32:33]
	;; [unrolled: 1-line block ×3, first 2 shown]
	s_waitcnt vmcnt(0)
	v_pk_mul_f32 v[14:15], v[24:25], v[4:5] op_sel_hi:[0,1]
	v_pk_mul_f32 v[16:17], v[26:27], v[6:7] op_sel_hi:[0,1]
	v_mov_b32_e32 v24, v1
	v_pk_fma_f32 v[18:19], v[0:1], v[4:5], v[14:15] op_sel:[0,0,1] op_sel_hi:[1,1,0]
	v_pk_fma_f32 v[0:1], v[0:1], v[4:5], v[14:15] op_sel:[0,0,1] op_sel_hi:[0,1,0] neg_lo:[1,0,0] neg_hi:[1,0,0]
	v_pk_fma_f32 v[4:5], v[2:3], v[6:7], v[16:17] op_sel:[0,0,1] op_sel_hi:[1,1,0]
	v_pk_fma_f32 v[2:3], v[2:3], v[6:7], v[16:17] op_sel:[0,0,1] op_sel_hi:[0,1,0] neg_lo:[1,0,0] neg_hi:[1,0,0]
	v_mov_b32_e32 v19, v1
	v_mov_b32_e32 v5, v3
	v_pk_add_f32 v[0:1], v[18:19], v[4:5]
	v_pk_add_f32 v[2:3], v[18:19], v[4:5] neg_lo:[0,1] neg_hi:[0,1]
	v_pk_add_f32 v[6:7], v[24:25], v[18:19]
	v_pk_fma_f32 v[0:1], -0.5, v[0:1], v[24:25] op_sel_hi:[0,1,1]
	v_pk_mul_f32 v[2:3], v[2:3], s[2:3] op_sel_hi:[1,0]
	v_pk_add_f32 v[4:5], v[6:7], v[4:5]
	v_pk_add_f32 v[6:7], v[0:1], v[2:3] op_sel:[0,1] op_sel_hi:[1,0] neg_lo:[0,1] neg_hi:[0,1]
	v_pk_add_f32 v[0:1], v[0:1], v[2:3] op_sel:[0,1] op_sel_hi:[1,0]
	v_mov_b32_e32 v2, v6
	v_mov_b32_e32 v3, v1
	global_store_dwordx2 v[8:9], v[4:5], off
	v_mov_b32_e32 v1, v7
	global_store_dwordx2 v[10:11], v[2:3], off
	global_store_dwordx2 v[12:13], v[0:1], off
	s_endpgm
	.section	.rodata,"a",@progbits
	.p2align	6, 0x0
	.amdhsa_kernel fft_rtc_back_len867_factors_17_17_3_wgs_51_tpt_51_halfLds_sp_ip_CI_sbrr_dirReg
		.amdhsa_group_segment_fixed_size 0
		.amdhsa_private_segment_fixed_size 0
		.amdhsa_kernarg_size 88
		.amdhsa_user_sgpr_count 2
		.amdhsa_user_sgpr_dispatch_ptr 0
		.amdhsa_user_sgpr_queue_ptr 0
		.amdhsa_user_sgpr_kernarg_segment_ptr 1
		.amdhsa_user_sgpr_dispatch_id 0
		.amdhsa_user_sgpr_kernarg_preload_length 0
		.amdhsa_user_sgpr_kernarg_preload_offset 0
		.amdhsa_user_sgpr_private_segment_size 0
		.amdhsa_uses_dynamic_stack 0
		.amdhsa_enable_private_segment 0
		.amdhsa_system_sgpr_workgroup_id_x 1
		.amdhsa_system_sgpr_workgroup_id_y 0
		.amdhsa_system_sgpr_workgroup_id_z 0
		.amdhsa_system_sgpr_workgroup_info 0
		.amdhsa_system_vgpr_workitem_id 0
		.amdhsa_next_free_vgpr 176
		.amdhsa_next_free_sgpr 98
		.amdhsa_accum_offset 176
		.amdhsa_reserve_vcc 1
		.amdhsa_float_round_mode_32 0
		.amdhsa_float_round_mode_16_64 0
		.amdhsa_float_denorm_mode_32 3
		.amdhsa_float_denorm_mode_16_64 3
		.amdhsa_dx10_clamp 1
		.amdhsa_ieee_mode 1
		.amdhsa_fp16_overflow 0
		.amdhsa_tg_split 0
		.amdhsa_exception_fp_ieee_invalid_op 0
		.amdhsa_exception_fp_denorm_src 0
		.amdhsa_exception_fp_ieee_div_zero 0
		.amdhsa_exception_fp_ieee_overflow 0
		.amdhsa_exception_fp_ieee_underflow 0
		.amdhsa_exception_fp_ieee_inexact 0
		.amdhsa_exception_int_div_zero 0
	.end_amdhsa_kernel
	.text
.Lfunc_end0:
	.size	fft_rtc_back_len867_factors_17_17_3_wgs_51_tpt_51_halfLds_sp_ip_CI_sbrr_dirReg, .Lfunc_end0-fft_rtc_back_len867_factors_17_17_3_wgs_51_tpt_51_halfLds_sp_ip_CI_sbrr_dirReg
                                        ; -- End function
	.section	.AMDGPU.csdata,"",@progbits
; Kernel info:
; codeLenInByte = 14108
; NumSgprs: 104
; NumVgprs: 176
; NumAgprs: 0
; TotalNumVgprs: 176
; ScratchSize: 0
; MemoryBound: 0
; FloatMode: 240
; IeeeMode: 1
; LDSByteSize: 0 bytes/workgroup (compile time only)
; SGPRBlocks: 12
; VGPRBlocks: 21
; NumSGPRsForWavesPerEU: 104
; NumVGPRsForWavesPerEU: 176
; AccumOffset: 176
; Occupancy: 2
; WaveLimiterHint : 1
; COMPUTE_PGM_RSRC2:SCRATCH_EN: 0
; COMPUTE_PGM_RSRC2:USER_SGPR: 2
; COMPUTE_PGM_RSRC2:TRAP_HANDLER: 0
; COMPUTE_PGM_RSRC2:TGID_X_EN: 1
; COMPUTE_PGM_RSRC2:TGID_Y_EN: 0
; COMPUTE_PGM_RSRC2:TGID_Z_EN: 0
; COMPUTE_PGM_RSRC2:TIDIG_COMP_CNT: 0
; COMPUTE_PGM_RSRC3_GFX90A:ACCUM_OFFSET: 43
; COMPUTE_PGM_RSRC3_GFX90A:TG_SPLIT: 0
	.text
	.p2alignl 6, 3212836864
	.fill 256, 4, 3212836864
	.type	__hip_cuid_8cca4e54cccd7f51,@object ; @__hip_cuid_8cca4e54cccd7f51
	.section	.bss,"aw",@nobits
	.globl	__hip_cuid_8cca4e54cccd7f51
__hip_cuid_8cca4e54cccd7f51:
	.byte	0                               ; 0x0
	.size	__hip_cuid_8cca4e54cccd7f51, 1

	.ident	"AMD clang version 19.0.0git (https://github.com/RadeonOpenCompute/llvm-project roc-6.4.0 25133 c7fe45cf4b819c5991fe208aaa96edf142730f1d)"
	.section	".note.GNU-stack","",@progbits
	.addrsig
	.addrsig_sym __hip_cuid_8cca4e54cccd7f51
	.amdgpu_metadata
---
amdhsa.kernels:
  - .agpr_count:     0
    .args:
      - .actual_access:  read_only
        .address_space:  global
        .offset:         0
        .size:           8
        .value_kind:     global_buffer
      - .offset:         8
        .size:           8
        .value_kind:     by_value
      - .actual_access:  read_only
        .address_space:  global
        .offset:         16
        .size:           8
        .value_kind:     global_buffer
      - .actual_access:  read_only
        .address_space:  global
        .offset:         24
        .size:           8
        .value_kind:     global_buffer
      - .offset:         32
        .size:           8
        .value_kind:     by_value
      - .actual_access:  read_only
        .address_space:  global
        .offset:         40
        .size:           8
        .value_kind:     global_buffer
      - .actual_access:  read_only
        .address_space:  global
        .offset:         48
        .size:           8
        .value_kind:     global_buffer
      - .offset:         56
        .size:           4
        .value_kind:     by_value
      - .actual_access:  read_only
        .address_space:  global
        .offset:         64
        .size:           8
        .value_kind:     global_buffer
      - .actual_access:  read_only
        .address_space:  global
        .offset:         72
        .size:           8
        .value_kind:     global_buffer
      - .address_space:  global
        .offset:         80
        .size:           8
        .value_kind:     global_buffer
    .group_segment_fixed_size: 0
    .kernarg_segment_align: 8
    .kernarg_segment_size: 88
    .language:       OpenCL C
    .language_version:
      - 2
      - 0
    .max_flat_workgroup_size: 51
    .name:           fft_rtc_back_len867_factors_17_17_3_wgs_51_tpt_51_halfLds_sp_ip_CI_sbrr_dirReg
    .private_segment_fixed_size: 0
    .sgpr_count:     104
    .sgpr_spill_count: 0
    .symbol:         fft_rtc_back_len867_factors_17_17_3_wgs_51_tpt_51_halfLds_sp_ip_CI_sbrr_dirReg.kd
    .uniform_work_group_size: 1
    .uses_dynamic_stack: false
    .vgpr_count:     176
    .vgpr_spill_count: 0
    .wavefront_size: 64
amdhsa.target:   amdgcn-amd-amdhsa--gfx950
amdhsa.version:
  - 1
  - 2
...

	.end_amdgpu_metadata
